;; amdgpu-corpus repo=ROCm/rocFFT kind=compiled arch=gfx1201 opt=O3
	.text
	.amdgcn_target "amdgcn-amd-amdhsa--gfx1201"
	.amdhsa_code_object_version 6
	.protected	fft_rtc_fwd_len1872_factors_13_3_4_6_2_wgs_156_tpt_156_halfLds_half_op_CI_CI_unitstride_sbrr_R2C_dirReg ; -- Begin function fft_rtc_fwd_len1872_factors_13_3_4_6_2_wgs_156_tpt_156_halfLds_half_op_CI_CI_unitstride_sbrr_R2C_dirReg
	.globl	fft_rtc_fwd_len1872_factors_13_3_4_6_2_wgs_156_tpt_156_halfLds_half_op_CI_CI_unitstride_sbrr_R2C_dirReg
	.p2align	8
	.type	fft_rtc_fwd_len1872_factors_13_3_4_6_2_wgs_156_tpt_156_halfLds_half_op_CI_CI_unitstride_sbrr_R2C_dirReg,@function
fft_rtc_fwd_len1872_factors_13_3_4_6_2_wgs_156_tpt_156_halfLds_half_op_CI_CI_unitstride_sbrr_R2C_dirReg: ; @fft_rtc_fwd_len1872_factors_13_3_4_6_2_wgs_156_tpt_156_halfLds_half_op_CI_CI_unitstride_sbrr_R2C_dirReg
; %bb.0:
	s_clause 0x2
	s_load_b128 s[8:11], s[0:1], 0x0
	s_load_b128 s[4:7], s[0:1], 0x58
	;; [unrolled: 1-line block ×3, first 2 shown]
	v_mul_u32_u24_e32 v1, 0x1a5, v0
	v_mov_b32_e32 v3, 0
	v_mov_b32_e32 v7, 0
	;; [unrolled: 1-line block ×3, first 2 shown]
	s_delay_alu instid0(VALU_DEP_4) | instskip(NEXT) | instid1(VALU_DEP_1)
	v_lshrrev_b32_e32 v1, 16, v1
	v_dual_mov_b32 v10, v3 :: v_dual_add_nc_u32 v9, ttmp9, v1
	s_wait_kmcnt 0x0
	v_cmp_lt_u64_e64 s2, s[10:11], 2
	s_delay_alu instid0(VALU_DEP_1)
	s_and_b32 vcc_lo, exec_lo, s2
	s_cbranch_vccnz .LBB0_8
; %bb.1:
	s_load_b64 s[2:3], s[0:1], 0x10
	v_mov_b32_e32 v7, 0
	v_mov_b32_e32 v8, 0
	s_delay_alu instid0(VALU_DEP_2)
	v_mov_b32_e32 v1, v7
	s_add_nc_u64 s[16:17], s[14:15], 8
	s_add_nc_u64 s[18:19], s[12:13], 8
	s_mov_b64 s[20:21], 1
	v_mov_b32_e32 v2, v8
	s_wait_kmcnt 0x0
	s_add_nc_u64 s[22:23], s[2:3], 8
	s_mov_b32 s3, 0
.LBB0_2:                                ; =>This Inner Loop Header: Depth=1
	s_load_b64 s[24:25], s[22:23], 0x0
                                        ; implicit-def: $vgpr5_vgpr6
	s_mov_b32 s2, exec_lo
	s_wait_kmcnt 0x0
	v_or_b32_e32 v4, s25, v10
	s_delay_alu instid0(VALU_DEP_1)
	v_cmpx_ne_u64_e32 0, v[3:4]
	s_wait_alu 0xfffe
	s_xor_b32 s26, exec_lo, s2
	s_cbranch_execz .LBB0_4
; %bb.3:                                ;   in Loop: Header=BB0_2 Depth=1
	s_cvt_f32_u32 s2, s24
	s_cvt_f32_u32 s27, s25
	s_sub_nc_u64 s[30:31], 0, s[24:25]
	s_wait_alu 0xfffe
	s_delay_alu instid0(SALU_CYCLE_1) | instskip(SKIP_1) | instid1(SALU_CYCLE_2)
	s_fmamk_f32 s2, s27, 0x4f800000, s2
	s_wait_alu 0xfffe
	v_s_rcp_f32 s2, s2
	s_delay_alu instid0(TRANS32_DEP_1) | instskip(SKIP_1) | instid1(SALU_CYCLE_2)
	s_mul_f32 s2, s2, 0x5f7ffffc
	s_wait_alu 0xfffe
	s_mul_f32 s27, s2, 0x2f800000
	s_wait_alu 0xfffe
	s_delay_alu instid0(SALU_CYCLE_2) | instskip(SKIP_1) | instid1(SALU_CYCLE_2)
	s_trunc_f32 s27, s27
	s_wait_alu 0xfffe
	s_fmamk_f32 s2, s27, 0xcf800000, s2
	s_cvt_u32_f32 s29, s27
	s_wait_alu 0xfffe
	s_delay_alu instid0(SALU_CYCLE_1) | instskip(SKIP_1) | instid1(SALU_CYCLE_2)
	s_cvt_u32_f32 s28, s2
	s_wait_alu 0xfffe
	s_mul_u64 s[34:35], s[30:31], s[28:29]
	s_wait_alu 0xfffe
	s_mul_hi_u32 s37, s28, s35
	s_mul_i32 s36, s28, s35
	s_mul_hi_u32 s2, s28, s34
	s_mul_i32 s33, s29, s34
	s_wait_alu 0xfffe
	s_add_nc_u64 s[36:37], s[2:3], s[36:37]
	s_mul_hi_u32 s27, s29, s34
	s_mul_hi_u32 s38, s29, s35
	s_add_co_u32 s2, s36, s33
	s_wait_alu 0xfffe
	s_add_co_ci_u32 s2, s37, s27
	s_mul_i32 s34, s29, s35
	s_add_co_ci_u32 s35, s38, 0
	s_wait_alu 0xfffe
	s_add_nc_u64 s[34:35], s[2:3], s[34:35]
	s_wait_alu 0xfffe
	v_add_co_u32 v4, s2, s28, s34
	s_delay_alu instid0(VALU_DEP_1) | instskip(SKIP_1) | instid1(VALU_DEP_1)
	s_cmp_lg_u32 s2, 0
	s_add_co_ci_u32 s29, s29, s35
	v_readfirstlane_b32 s28, v4
	s_wait_alu 0xfffe
	s_delay_alu instid0(VALU_DEP_1)
	s_mul_u64 s[30:31], s[30:31], s[28:29]
	s_wait_alu 0xfffe
	s_mul_hi_u32 s35, s28, s31
	s_mul_i32 s34, s28, s31
	s_mul_hi_u32 s2, s28, s30
	s_mul_i32 s33, s29, s30
	s_wait_alu 0xfffe
	s_add_nc_u64 s[34:35], s[2:3], s[34:35]
	s_mul_hi_u32 s27, s29, s30
	s_mul_hi_u32 s28, s29, s31
	s_wait_alu 0xfffe
	s_add_co_u32 s2, s34, s33
	s_add_co_ci_u32 s2, s35, s27
	s_mul_i32 s30, s29, s31
	s_add_co_ci_u32 s31, s28, 0
	s_wait_alu 0xfffe
	s_add_nc_u64 s[30:31], s[2:3], s[30:31]
	s_wait_alu 0xfffe
	v_add_co_u32 v6, s2, v4, s30
	s_delay_alu instid0(VALU_DEP_1) | instskip(SKIP_1) | instid1(VALU_DEP_1)
	s_cmp_lg_u32 s2, 0
	s_add_co_ci_u32 s2, s29, s31
	v_mul_hi_u32 v15, v9, v6
	s_wait_alu 0xfffe
	v_mad_co_u64_u32 v[4:5], null, v9, s2, 0
	v_mad_co_u64_u32 v[11:12], null, v10, v6, 0
	;; [unrolled: 1-line block ×3, first 2 shown]
	s_delay_alu instid0(VALU_DEP_3) | instskip(SKIP_1) | instid1(VALU_DEP_4)
	v_add_co_u32 v4, vcc_lo, v15, v4
	s_wait_alu 0xfffd
	v_add_co_ci_u32_e32 v5, vcc_lo, 0, v5, vcc_lo
	s_delay_alu instid0(VALU_DEP_2) | instskip(SKIP_1) | instid1(VALU_DEP_2)
	v_add_co_u32 v4, vcc_lo, v4, v11
	s_wait_alu 0xfffd
	v_add_co_ci_u32_e32 v4, vcc_lo, v5, v12, vcc_lo
	s_wait_alu 0xfffd
	v_add_co_ci_u32_e32 v5, vcc_lo, 0, v14, vcc_lo
	s_delay_alu instid0(VALU_DEP_2) | instskip(SKIP_1) | instid1(VALU_DEP_2)
	v_add_co_u32 v11, vcc_lo, v4, v13
	s_wait_alu 0xfffd
	v_add_co_ci_u32_e32 v6, vcc_lo, 0, v5, vcc_lo
	s_delay_alu instid0(VALU_DEP_2) | instskip(SKIP_1) | instid1(VALU_DEP_3)
	v_mul_lo_u32 v12, s25, v11
	v_mad_co_u64_u32 v[4:5], null, s24, v11, 0
	v_mul_lo_u32 v13, s24, v6
	s_delay_alu instid0(VALU_DEP_2) | instskip(NEXT) | instid1(VALU_DEP_2)
	v_sub_co_u32 v4, vcc_lo, v9, v4
	v_add3_u32 v5, v5, v13, v12
	s_delay_alu instid0(VALU_DEP_1) | instskip(SKIP_1) | instid1(VALU_DEP_1)
	v_sub_nc_u32_e32 v12, v10, v5
	s_wait_alu 0xfffd
	v_subrev_co_ci_u32_e64 v12, s2, s25, v12, vcc_lo
	v_add_co_u32 v13, s2, v11, 2
	s_wait_alu 0xf1ff
	v_add_co_ci_u32_e64 v14, s2, 0, v6, s2
	v_sub_co_u32 v15, s2, v4, s24
	v_sub_co_ci_u32_e32 v5, vcc_lo, v10, v5, vcc_lo
	s_wait_alu 0xf1ff
	v_subrev_co_ci_u32_e64 v12, s2, 0, v12, s2
	s_delay_alu instid0(VALU_DEP_3) | instskip(NEXT) | instid1(VALU_DEP_3)
	v_cmp_le_u32_e32 vcc_lo, s24, v15
	v_cmp_eq_u32_e64 s2, s25, v5
	s_wait_alu 0xfffd
	v_cndmask_b32_e64 v15, 0, -1, vcc_lo
	v_cmp_le_u32_e32 vcc_lo, s25, v12
	s_wait_alu 0xfffd
	v_cndmask_b32_e64 v16, 0, -1, vcc_lo
	v_cmp_le_u32_e32 vcc_lo, s24, v4
	;; [unrolled: 3-line block ×3, first 2 shown]
	s_wait_alu 0xfffd
	v_cndmask_b32_e64 v17, 0, -1, vcc_lo
	v_cmp_eq_u32_e32 vcc_lo, s25, v12
	s_wait_alu 0xf1ff
	s_delay_alu instid0(VALU_DEP_2)
	v_cndmask_b32_e64 v4, v17, v4, s2
	s_wait_alu 0xfffd
	v_cndmask_b32_e32 v12, v16, v15, vcc_lo
	v_add_co_u32 v15, vcc_lo, v11, 1
	s_wait_alu 0xfffd
	v_add_co_ci_u32_e32 v16, vcc_lo, 0, v6, vcc_lo
	s_delay_alu instid0(VALU_DEP_3) | instskip(SKIP_1) | instid1(VALU_DEP_2)
	v_cmp_ne_u32_e32 vcc_lo, 0, v12
	s_wait_alu 0xfffd
	v_dual_cndmask_b32 v5, v16, v14 :: v_dual_cndmask_b32 v12, v15, v13
	v_cmp_ne_u32_e32 vcc_lo, 0, v4
	s_wait_alu 0xfffd
	s_delay_alu instid0(VALU_DEP_2)
	v_dual_cndmask_b32 v6, v6, v5 :: v_dual_cndmask_b32 v5, v11, v12
.LBB0_4:                                ;   in Loop: Header=BB0_2 Depth=1
	s_wait_alu 0xfffe
	s_and_not1_saveexec_b32 s2, s26
	s_cbranch_execz .LBB0_6
; %bb.5:                                ;   in Loop: Header=BB0_2 Depth=1
	v_cvt_f32_u32_e32 v4, s24
	s_sub_co_i32 s26, 0, s24
	s_delay_alu instid0(VALU_DEP_1) | instskip(NEXT) | instid1(TRANS32_DEP_1)
	v_rcp_iflag_f32_e32 v4, v4
	v_mul_f32_e32 v4, 0x4f7ffffe, v4
	s_delay_alu instid0(VALU_DEP_1) | instskip(SKIP_1) | instid1(VALU_DEP_1)
	v_cvt_u32_f32_e32 v4, v4
	s_wait_alu 0xfffe
	v_mul_lo_u32 v5, s26, v4
	s_delay_alu instid0(VALU_DEP_1) | instskip(NEXT) | instid1(VALU_DEP_1)
	v_mul_hi_u32 v5, v4, v5
	v_add_nc_u32_e32 v4, v4, v5
	s_delay_alu instid0(VALU_DEP_1) | instskip(NEXT) | instid1(VALU_DEP_1)
	v_mul_hi_u32 v4, v9, v4
	v_mul_lo_u32 v5, v4, s24
	v_add_nc_u32_e32 v6, 1, v4
	s_delay_alu instid0(VALU_DEP_2) | instskip(NEXT) | instid1(VALU_DEP_1)
	v_sub_nc_u32_e32 v5, v9, v5
	v_subrev_nc_u32_e32 v11, s24, v5
	v_cmp_le_u32_e32 vcc_lo, s24, v5
	s_wait_alu 0xfffd
	s_delay_alu instid0(VALU_DEP_2) | instskip(NEXT) | instid1(VALU_DEP_1)
	v_dual_cndmask_b32 v5, v5, v11 :: v_dual_cndmask_b32 v4, v4, v6
	v_cmp_le_u32_e32 vcc_lo, s24, v5
	s_delay_alu instid0(VALU_DEP_2) | instskip(SKIP_1) | instid1(VALU_DEP_1)
	v_add_nc_u32_e32 v6, 1, v4
	s_wait_alu 0xfffd
	v_dual_cndmask_b32 v5, v4, v6 :: v_dual_mov_b32 v6, v3
.LBB0_6:                                ;   in Loop: Header=BB0_2 Depth=1
	s_wait_alu 0xfffe
	s_or_b32 exec_lo, exec_lo, s2
	s_delay_alu instid0(VALU_DEP_1) | instskip(NEXT) | instid1(VALU_DEP_2)
	v_mul_lo_u32 v4, v6, s24
	v_mul_lo_u32 v13, v5, s25
	s_load_b64 s[26:27], s[18:19], 0x0
	v_mad_co_u64_u32 v[11:12], null, v5, s24, 0
	s_load_b64 s[24:25], s[16:17], 0x0
	s_add_nc_u64 s[20:21], s[20:21], 1
	s_add_nc_u64 s[16:17], s[16:17], 8
	s_wait_alu 0xfffe
	v_cmp_ge_u64_e64 s2, s[20:21], s[10:11]
	s_add_nc_u64 s[18:19], s[18:19], 8
	s_add_nc_u64 s[22:23], s[22:23], 8
	v_add3_u32 v4, v12, v13, v4
	v_sub_co_u32 v9, vcc_lo, v9, v11
	s_wait_alu 0xfffd
	s_delay_alu instid0(VALU_DEP_2) | instskip(SKIP_2) | instid1(VALU_DEP_1)
	v_sub_co_ci_u32_e32 v4, vcc_lo, v10, v4, vcc_lo
	s_and_b32 vcc_lo, exec_lo, s2
	s_wait_kmcnt 0x0
	v_mul_lo_u32 v10, s26, v4
	v_mul_lo_u32 v11, s27, v9
	v_mad_co_u64_u32 v[7:8], null, s26, v9, v[7:8]
	v_mul_lo_u32 v4, s24, v4
	v_mul_lo_u32 v12, s25, v9
	v_mad_co_u64_u32 v[1:2], null, s24, v9, v[1:2]
	s_delay_alu instid0(VALU_DEP_4) | instskip(NEXT) | instid1(VALU_DEP_2)
	v_add3_u32 v8, v11, v8, v10
	v_add3_u32 v2, v12, v2, v4
	s_wait_alu 0xfffe
	s_cbranch_vccnz .LBB0_9
; %bb.7:                                ;   in Loop: Header=BB0_2 Depth=1
	v_dual_mov_b32 v10, v6 :: v_dual_mov_b32 v9, v5
	s_branch .LBB0_2
.LBB0_8:
	v_dual_mov_b32 v1, v7 :: v_dual_mov_b32 v2, v8
	v_dual_mov_b32 v5, v9 :: v_dual_mov_b32 v6, v10
.LBB0_9:
	s_load_b64 s[0:1], s[0:1], 0x28
	v_mul_hi_u32 v4, 0x1a41a42, v0
                                        ; implicit-def: $vgpr3
	s_wait_kmcnt 0x0
	s_delay_alu instid0(VALU_DEP_2) | instskip(SKIP_1) | instid1(VALU_DEP_1)
	v_cmp_gt_u64_e32 vcc_lo, s[0:1], v[5:6]
	v_cmp_le_u64_e64 s0, s[0:1], v[5:6]
	s_and_saveexec_b32 s1, s0
	s_wait_alu 0xfffe
	s_xor_b32 s0, exec_lo, s1
; %bb.10:
	s_delay_alu instid0(VALU_DEP_3) | instskip(NEXT) | instid1(VALU_DEP_1)
	v_mul_u32_u24_e32 v3, 0x9c, v4
                                        ; implicit-def: $vgpr4
                                        ; implicit-def: $vgpr7_vgpr8
	v_sub_nc_u32_e32 v3, v0, v3
                                        ; implicit-def: $vgpr0
; %bb.11:
	s_wait_alu 0xfffe
	s_or_saveexec_b32 s1, s0
	s_lshl_b64 s[2:3], s[10:11], 3
	s_wait_alu 0xfffe
	s_xor_b32 exec_lo, exec_lo, s1
	s_cbranch_execz .LBB0_13
; %bb.12:
	s_add_nc_u64 s[10:11], s[12:13], s[2:3]
	v_lshlrev_b64_e32 v[7:8], 2, v[7:8]
	s_load_b64 s[10:11], s[10:11], 0x0
	s_wait_kmcnt 0x0
	v_mul_lo_u32 v3, s11, v5
	v_mul_lo_u32 v11, s10, v6
	v_mad_co_u64_u32 v[9:10], null, s10, v5, 0
	s_delay_alu instid0(VALU_DEP_1) | instskip(SKIP_1) | instid1(VALU_DEP_2)
	v_add3_u32 v10, v10, v11, v3
	v_mul_u32_u24_e32 v3, 0x9c, v4
	v_lshlrev_b64_e32 v[9:10], 2, v[9:10]
	s_delay_alu instid0(VALU_DEP_2) | instskip(NEXT) | instid1(VALU_DEP_2)
	v_sub_nc_u32_e32 v3, v0, v3
	v_add_co_u32 v0, s0, s4, v9
	s_wait_alu 0xf1ff
	s_delay_alu instid0(VALU_DEP_3) | instskip(NEXT) | instid1(VALU_DEP_3)
	v_add_co_ci_u32_e64 v4, s0, s5, v10, s0
	v_lshlrev_b32_e32 v9, 2, v3
	s_delay_alu instid0(VALU_DEP_3) | instskip(SKIP_1) | instid1(VALU_DEP_3)
	v_add_co_u32 v0, s0, v0, v7
	s_wait_alu 0xf1ff
	v_add_co_ci_u32_e64 v4, s0, v4, v8, s0
	s_delay_alu instid0(VALU_DEP_2) | instskip(SKIP_1) | instid1(VALU_DEP_2)
	v_add_co_u32 v7, s0, v0, v9
	s_wait_alu 0xf1ff
	v_add_co_ci_u32_e64 v8, s0, 0, v4, s0
	s_clause 0xb
	global_load_b32 v0, v[7:8], off
	global_load_b32 v4, v[7:8], off offset:624
	global_load_b32 v10, v[7:8], off offset:1248
	;; [unrolled: 1-line block ×11, first 2 shown]
	v_add_nc_u32_e32 v8, 0, v9
	s_delay_alu instid0(VALU_DEP_1)
	v_add_nc_u32_e32 v9, 0x400, v8
	v_add_nc_u32_e32 v19, 0x900, v8
	;; [unrolled: 1-line block ×5, first 2 shown]
	s_wait_loadcnt 0xa
	ds_store_2addr_b32 v8, v0, v4 offset1:156
	s_wait_loadcnt 0x8
	ds_store_2addr_b32 v9, v10, v11 offset0:56 offset1:212
	s_wait_loadcnt 0x6
	ds_store_2addr_b32 v19, v12, v13 offset0:48 offset1:204
	;; [unrolled: 2-line block ×5, first 2 shown]
.LBB0_13:
	s_or_b32 exec_lo, exec_lo, s1
	v_lshl_add_u32 v0, v3, 2, 0
	global_wb scope:SCOPE_SE
	s_wait_dscnt 0x0
	s_barrier_signal -1
	s_barrier_wait -1
	global_inv scope:SCOPE_SE
	v_add_nc_u32_e32 v19, 0x400, v0
	v_add_nc_u32_e32 v4, 0x800, v0
	v_add_nc_u32_e32 v9, 0xc00, v0
	v_add_nc_u32_e32 v20, 0x1200, v0
	v_add_nc_u32_e32 v10, 0x1600, v0
	ds_load_2addr_b32 v[7:8], v0 offset1:144
	ds_load_2addr_b32 v[17:18], v19 offset0:32 offset1:176
	ds_load_2addr_b32 v[15:16], v4 offset0:64 offset1:208
	;; [unrolled: 1-line block ×3, first 2 shown]
	ds_load_2addr_b32 v[11:12], v20 offset1:144
	ds_load_2addr_b32 v[9:10], v10 offset0:32 offset1:176
	ds_load_b32 v29, v0 offset:6912
	s_add_nc_u64 s[2:3], s[14:15], s[2:3]
	s_mov_b32 s1, exec_lo
	global_wb scope:SCOPE_SE
	s_wait_dscnt 0x0
	s_barrier_signal -1
	s_barrier_wait -1
	global_inv scope:SCOPE_SE
	v_cmpx_gt_u32_e32 0x90, v3
	s_cbranch_execz .LBB0_15
; %bb.14:
	v_pk_add_f16 v22, v7, v8
	v_pk_add_f16 v21, v8, v29 neg_lo:[0,1] neg_hi:[0,1]
	v_pk_add_f16 v27, v29, v8
	v_pk_add_f16 v28, v10, v17
	;; [unrolled: 1-line block ×4, first 2 shown]
	v_pk_add_f16 v17, v17, v10 neg_lo:[0,1] neg_hi:[0,1]
	v_lshrrev_b32_e32 v53, 16, v21
	v_pk_add_f16 v22, v18, v9 neg_lo:[0,1] neg_hi:[0,1]
	v_pk_add_f16 v23, v16, v11 neg_lo:[0,1] neg_hi:[0,1]
	v_pk_add_f16 v8, v8, v18
	v_lshrrev_b32_e32 v57, 16, v17
	v_mul_f16_e32 v56, 0xbbf1, v53
	v_pk_add_f16 v18, v15, v12 neg_lo:[0,1] neg_hi:[0,1]
	v_lshrrev_b32_e32 v61, 16, v22
	v_pk_add_f16 v31, v8, v15
	v_mul_f16_e32 v60, 0xb3a8, v57
	v_fmamk_f16 v59, v27, 0x2fb7, v56
	v_lshrrev_b32_e32 v32, 16, v27
	v_mul_f16_e32 v63, 0x3b7b, v61
	v_lshrrev_b32_e32 v64, 16, v18
	v_fmamk_f16 v62, v28, 0xbbc4, v60
	v_add_f16_e32 v59, v7, v59
	v_pk_add_f16 v25, v12, v15
	v_pk_add_f16 v26, v11, v16
	v_pk_add_f16 v8, v13, v14 neg_lo:[0,1] neg_hi:[0,1]
	v_lshrrev_b32_e32 v33, 16, v28
	v_pk_add_f16 v16, v31, v16
	v_mul_f16_e32 v36, 0x388b, v32
	v_add_f16_e32 v59, v62, v59
	v_fmamk_f16 v62, v24, 0xb5ac, v63
	v_mul_f16_e32 v67, 0x3770, v64
	v_lshrrev_b32_e32 v68, 16, v23
	v_lshrrev_b32_e32 v30, 16, v7
	v_pk_add_f16 v15, v14, v13
	v_lshrrev_b32_e32 v31, 16, v24
	v_pk_add_f16 v13, v16, v13
	v_mul_f16_e32 v38, 0xb5ac, v33
	v_fmamk_f16 v39, v21, 0x3a95, v36
	v_mul_f16_e32 v70, 0xb5ac, v32
	v_add_f16_e32 v59, v62, v59
	v_fmamk_f16 v62, v25, 0x3b15, v67
	v_mul_f16_e32 v71, 0xba95, v68
	v_lshrrev_b32_e32 v72, 16, v8
	v_lshrrev_b32_e32 v34, 16, v25
	v_pk_add_f16 v13, v13, v14
	v_mul_f16_e32 v40, 0xbbc4, v31
	v_fmamk_f16 v41, v17, 0x3b7b, v38
	v_add_f16_e32 v39, v30, v39
	v_fmamk_f16 v73, v21, 0x3b7b, v70
	v_mul_f16_e32 v74, 0xb9fd, v33
	v_add_f16_e32 v59, v62, v59
	v_fmamk_f16 v62, v26, 0x388b, v71
	v_mul_f16_e32 v75, 0xb94e, v72
	v_lshrrev_b32_e32 v35, 16, v26
	v_pk_add_f16 v11, v13, v11
	v_mul_f16_e32 v42, 0xb9fd, v34
	v_fmamk_f16 v43, v22, 0x33a8, v40
	v_add_f16_e32 v39, v41, v39
	v_add_f16_e32 v73, v30, v73
	v_fmamk_f16 v76, v17, 0xb94e, v74
	v_mul_f16_e32 v77, 0x3b15, v31
	v_add_f16_e32 v59, v62, v59
	v_fmamk_f16 v62, v15, 0xb9fd, v75
	v_mul_f16_e32 v78, 0xbb7b, v53
	v_lshrrev_b32_e32 v16, 16, v15
	v_pk_add_f16 v11, v11, v12
	v_mul_f16_e32 v12, 0x2fb7, v35
	v_fmamk_f16 v44, v18, 0xb94e, v42
	v_add_f16_e32 v39, v43, v39
	v_add_f16_e32 v73, v76, v73
	v_fmamk_f16 v76, v22, 0xb770, v77
	v_mul_f16_e32 v79, 0x2fb7, v34
	v_add_f16_e32 v59, v62, v59
	v_fmamk_f16 v62, v27, 0xb5ac, v78
	v_mul_f16_e32 v80, 0x394e, v57
	v_mul_f16_e32 v41, 0x3b15, v16
	v_pk_add_f16 v9, v11, v9
	v_fmamk_f16 v45, v23, 0xbbf1, v12
	v_add_f16_e32 v39, v44, v39
	v_add_f16_e32 v73, v76, v73
	v_fmamk_f16 v76, v18, 0x3bf1, v79
	v_mul_f16_e32 v81, 0xbbc4, v35
	v_add_f16_e32 v62, v7, v62
	v_fmamk_f16 v82, v28, 0xb9fd, v80
	v_mul_f16_e32 v83, 0x3770, v61
	v_pk_add_f16 v9, v9, v10
	v_mul_f16_e32 v46, 0x2fb7, v32
	v_fmamk_f16 v47, v8, 0xb770, v41
	v_add_f16_e32 v39, v45, v39
	v_add_f16_e32 v73, v76, v73
	v_fmamk_f16 v76, v23, 0xb3a8, v81
	v_mul_f16_e32 v84, 0x388b, v16
	v_add_f16_e32 v62, v82, v62
	v_fmamk_f16 v82, v24, 0x3b15, v83
	v_mul_f16_e32 v85, 0xbbf1, v64
	v_pk_add_f16 v10, v9, v29
	v_add_f16_e32 v9, v47, v39
	v_fmamk_f16 v39, v21, 0x3bf1, v46
	v_mul_f16_e32 v47, 0xbbc4, v33
	v_add_f16_e32 v73, v76, v73
	v_fmamk_f16 v76, v8, 0xba95, v84
	v_mul_f16_e32 v32, 0xb9fd, v32
	;; [unrolled: 3-line block ×9, first 2 shown]
	v_add_f16_e32 v39, v50, v39
	v_fmamk_f16 v50, v18, 0xb770, v54
	v_add_f16_e32 v76, v88, v76
	v_fmamk_f16 v88, v22, 0x3a95, v31
	v_mul_f16_e32 v34, 0xbbc4, v34
	v_add_f16_e32 v62, v82, v62
	v_fmamk_f16 v82, v27, 0xb9fd, v89
	v_mul_f16_e32 v90, 0x3bf1, v57
	v_add_f16_e32 v39, v50, v39
	v_mul_f16_e32 v50, 0x388b, v35
	v_add_f16_e32 v76, v88, v76
	v_fmamk_f16 v88, v18, 0xb3a8, v34
	v_mul_f16_e32 v35, 0x3b15, v35
	v_add_f16_e32 v82, v7, v82
	v_fmamk_f16 v91, v28, 0x2fb7, v90
	v_mul_f16_e32 v92, 0xba95, v61
	v_mul_f16_e32 v66, 0xb9fd, v16
	v_add_f16_e32 v76, v88, v76
	v_fmamk_f16 v88, v23, 0xb770, v35
	v_mul_f16_e32 v16, 0xb5ac, v16
	v_add_f16_e32 v82, v91, v82
	v_fmamk_f16 v91, v24, 0x388b, v92
	v_mul_f16_e32 v93, 0x33a8, v64
	v_fmac_f16_e32 v32, 0xb94e, v21
	v_add_f16_e32 v76, v88, v76
	v_fmamk_f16 v88, v8, 0x3b7b, v16
	v_add_f16_e32 v82, v91, v82
	v_fmamk_f16 v91, v25, 0xbbc4, v93
	v_mul_f16_e32 v94, 0x3770, v68
	v_add_f16_e32 v32, v30, v32
	v_fmac_f16_e32 v33, 0x3bf1, v17
	v_add_f16_e32 v76, v88, v76
	v_add_f16_e32 v82, v91, v82
	v_fmamk_f16 v88, v26, 0x3b15, v94
	v_mul_f16_e32 v91, 0xbb7b, v72
	v_fma_f16 v89, v27, 0xb9fd, -v89
	v_add_f16_e32 v32, v33, v32
	v_fmac_f16_e32 v31, 0xba95, v22
	v_add_f16_e32 v33, v88, v82
	v_fmamk_f16 v82, v15, 0xb5ac, v91
	v_add_f16_e32 v88, v7, v89
	v_fma_f16 v89, v28, 0x2fb7, -v90
	v_add_f16_e32 v31, v31, v32
	v_fmac_f16_e32 v34, 0x33a8, v18
	v_add_f16_e32 v32, v82, v33
	v_fmac_f16_e32 v70, 0xbb7b, v21
	v_add_f16_e32 v33, v89, v88
	v_fma_f16 v82, v24, 0x388b, -v92
	v_add_f16_e32 v31, v34, v31
	v_fmac_f16_e32 v35, 0x3770, v23
	v_add_f16_e32 v34, v30, v70
	v_fma_f16 v70, v25, 0xbbc4, -v93
	;; [unrolled: 4-line block ×3, first 2 shown]
	v_fmac_f16_e32 v46, 0xbbf1, v21
	v_add_f16_e32 v33, v70, v33
	v_fma_f16 v70, v28, 0xb9fd, -v80
	v_add_f16_e32 v16, v16, v31
	v_fma_f16 v31, v27, 0xb5ac, -v78
	v_add_f16_e32 v46, v30, v46
	v_add_f16_e32 v33, v35, v33
	v_fma_f16 v35, v15, 0xb5ac, -v91
	v_fmac_f16_e32 v47, 0xb3a8, v17
	v_add_f16_e32 v31, v7, v31
	v_fma_f16 v56, v27, 0x2fb7, -v56
	v_fmac_f16_e32 v51, 0x3b7b, v22
	v_add_f16_e32 v33, v35, v33
	v_fma_f16 v35, v24, 0x3b15, -v83
	v_add_f16_e32 v31, v70, v31
	v_add_f16_e32 v46, v47, v46
	;; [unrolled: 1-line block ×3, first 2 shown]
	v_fma_f16 v56, v28, 0xbbc4, -v60
	v_pk_mul_f16 v37, 0x3b15388b, v27
	v_add_f16_e32 v31, v35, v31
	v_fma_f16 v35, v25, 0x2fb7, -v85
	v_add_f16_e32 v46, v51, v46
	v_add_f16_e32 v47, v56, v47
	v_fma_f16 v51, v24, 0xb5ac, -v63
	v_fmac_f16_e32 v36, 0xba95, v21
	v_add_f16_e32 v31, v35, v31
	v_fma_f16 v35, v26, 0xbbc4, -v86
	v_pk_mul_f16 v14, 0x388bb5ac, v28
	v_pk_fma_f16 v11, 0xba95b770, v21, v37 op_sel:[0,0,1] op_sel_hi:[1,1,0]
	v_add_f16_e32 v36, v30, v36
	v_fmac_f16_e32 v38, 0xbb7b, v17
	v_add_f16_e32 v31, v35, v31
	v_fma_f16 v35, v15, 0x388b, -v87
	v_pk_fma_f16 v43, 0xbb7bba95, v17, v14 op_sel:[0,0,1] op_sel_hi:[1,1,0]
	v_pk_add_f16 v44, v7, v11 op_sel:[1,0] op_sel_hi:[0,1]
	v_pk_fma_f16 v37, 0xba95b770, v21, v37 op_sel:[0,0,1] op_sel_hi:[1,1,0] neg_lo:[0,1,0] neg_hi:[0,1,0]
	v_add_f16_e32 v36, v38, v36
	v_add_f16_e32 v31, v35, v31
	;; [unrolled: 1-line block ×3, first 2 shown]
	v_fma_f16 v47, v25, 0x3b15, -v67
	v_fmac_f16_e32 v40, 0xb3a8, v22
	v_pk_fma_f16 v14, 0xbb7bba95, v17, v14 op_sel:[0,0,1] op_sel_hi:[1,1,0] neg_lo:[0,1,0] neg_hi:[0,1,0]
	v_pk_mul_f16 v13, 0x2fb7bbc4, v24
	v_pk_add_f16 v29, v43, v44
	v_add_f16_e32 v35, v47, v35
	v_fma_f16 v47, v26, 0x388b, -v71
	v_fmac_f16_e32 v54, 0x3770, v18
	v_bfi_b32 v11, 0xffff, v11, v37
	v_add_f16_e32 v36, v40, v36
	v_bfi_b32 v40, 0xffff, v43, v14
	v_add_f16_e32 v35, v47, v35
	v_fma_f16 v43, v15, 0xb9fd, -v75
	v_pk_fma_f16 v44, 0xb3a8bbf1, v22, v13 op_sel:[0,0,1] op_sel_hi:[1,1,0]
	v_pk_mul_f16 v45, 0xb5acb9fd, v25
	v_fmamk_f16 v65, v23, 0x3a95, v50
	v_add_f16_e32 v46, v54, v46
	v_fmac_f16_e32 v50, 0xba95, v23
	v_fmac_f16_e32 v42, 0x394e, v18
	v_pk_add_f16 v11, v7, v11 op_sel:[1,0] op_sel_hi:[0,1]
	v_pk_fma_f16 v13, 0xb3a8bbf1, v22, v13 op_sel:[0,0,1] op_sel_hi:[1,1,0] neg_lo:[0,1,0] neg_hi:[0,1,0]
	v_add_f16_e32 v35, v43, v35
	v_mul_f16_e32 v43, 0xb770, v53
	v_pk_add_f16 v29, v44, v29
	v_pk_fma_f16 v48, 0x394ebb7b, v18, v45 op_sel:[0,0,1] op_sel_hi:[1,1,0]
	v_add_f16_e32 v46, v50, v46
	v_fmamk_f16 v50, v8, 0xb94e, v66
	v_add_f16_e32 v36, v42, v36
	v_fmac_f16_e32 v12, 0x3bf1, v23
	v_pk_add_f16 v11, v40, v11
	v_bfi_b32 v40, 0xffff, v44, v13
	v_pk_fma_f16 v42, 0x394ebb7b, v18, v45 op_sel:[0,0,1] op_sel_hi:[1,1,0] neg_lo:[0,1,0] neg_hi:[0,1,0]
	v_fma_f16 v44, v27, 0x3b15, -v43
	v_mul_f16_e32 v45, 0xba95, v57
	v_pk_mul_f16 v49, 0xb9fd2fb7, v26
	v_add_f16_e32 v38, v50, v46
	v_add_f16_e32 v12, v12, v36
	v_fmac_f16_e32 v41, 0x3770, v8
	v_add_f16_e32 v44, v7, v44
	v_fma_f16 v46, v28, 0x388b, -v45
	v_mul_f16_e32 v47, 0xbbf1, v61
	v_pk_fma_f16 v52, 0x3bf1b94e, v23, v49 op_sel:[0,0,1] op_sel_hi:[1,1,0]
	v_pk_add_f16 v11, v40, v11
	v_bfi_b32 v36, 0xffff, v48, v42
	v_pk_fma_f16 v40, 0x3bf1b94e, v23, v49 op_sel:[0,0,1] op_sel_hi:[1,1,0] neg_lo:[0,1,0] neg_hi:[0,1,0]
	v_add_f16_e32 v12, v41, v12
	v_add_f16_e32 v41, v46, v44
	v_fma_f16 v44, v24, 0x2fb7, -v47
	v_mul_f16_e32 v46, 0xbb7b, v64
	v_pk_mul_f16 v58, 0xbbc43b15, v15
	v_pk_add_f16 v11, v36, v11
	v_bfi_b32 v36, 0xffff, v52, v40
	v_add_f16_e32 v30, v30, v37
	v_fmac_f16_e32 v43, 0x3b15, v27
	v_add_f16_e32 v37, v44, v41
	v_fma_f16 v41, v25, 0xb5ac, -v46
	v_mul_f16_e32 v44, 0xb94e, v68
	v_pk_add_f16 v29, v48, v29
	v_pk_add_f16 v11, v36, v11
	v_pk_fma_f16 v36, 0x3770b3a8, v8, v58 op_sel:[0,0,1] op_sel_hi:[1,1,0]
	v_pk_fma_f16 v48, 0x3770b3a8, v8, v58 op_sel:[0,0,1] op_sel_hi:[1,1,0] neg_lo:[0,1,0] neg_hi:[0,1,0]
	v_add_f16_e32 v14, v14, v30
	v_add_f16_e32 v30, v7, v43
	v_fmac_f16_e32 v45, 0x388b, v28
	v_add_f16_e32 v37, v41, v37
	v_fma_f16 v41, v26, 0xb9fd, -v44
	v_mul_f16_e32 v43, 0xb3a8, v72
	v_add_f16_e32 v13, v13, v14
	v_add_f16_e32 v14, v45, v30
	v_bfi_b32 v30, 0xffff, v36, v48
	v_add_f16_e32 v36, v41, v37
	v_fma_f16 v37, v15, 0xbbc4, -v43
	v_pk_mul_f16 v27, 0xbbc4, v27 op_sel_hi:[0,1]
	v_pk_mul_f16 v28, 0x3b15, v28 op_sel_hi:[0,1]
	v_pk_add_f16 v11, v30, v11
	v_fmac_f16_e32 v47, 0x2fb7, v24
	v_add_f16_e32 v30, v37, v36
	v_pk_fma_f16 v36, 0xb3a8, v21, v27 op_sel:[0,0,1] op_sel_hi:[0,1,0] neg_lo:[0,1,0] neg_hi:[0,1,0]
	v_pk_fma_f16 v21, 0xb3a8, v21, v27 op_sel:[0,0,1] op_sel_hi:[0,1,0]
	v_pk_mul_f16 v24, 0xb9fd, v24 op_sel_hi:[0,1]
	v_fmac_f16_e32 v74, 0x394e, v17
	v_fmac_f16_e32 v46, 0xb5ac, v25
	v_pk_add_f16 v27, v7, v36 op_sel:[1,0] op_sel_hi:[0,1]
	v_pk_fma_f16 v36, 0x3770, v17, v28 op_sel:[0,0,1] op_sel_hi:[0,1,0] neg_lo:[0,1,0] neg_hi:[0,1,0]
	v_pk_add_f16 v7, v7, v21 op_sel:[1,0] op_sel_hi:[0,1]
	v_pk_fma_f16 v17, 0x3770, v17, v28 op_sel:[0,0,1] op_sel_hi:[0,1,0]
	v_pk_mul_f16 v25, 0x388b, v25 op_sel_hi:[0,1]
	v_fmac_f16_e32 v77, 0x3770, v22
	v_pk_add_f16 v21, v36, v27
	v_pk_fma_f16 v27, 0xb94e, v22, v24 op_sel:[0,0,1] op_sel_hi:[0,1,0] neg_lo:[0,1,0] neg_hi:[0,1,0]
	v_pk_add_f16 v7, v17, v7
	v_pk_fma_f16 v17, 0xb94e, v22, v24 op_sel:[0,0,1] op_sel_hi:[0,1,0]
	v_pk_fma_f16 v22, 0x3a95, v18, v25 op_sel:[0,0,1] op_sel_hi:[0,1,0] neg_lo:[0,1,0] neg_hi:[0,1,0]
	v_pk_mul_f16 v24, 0xb5ac, v26 op_sel_hi:[0,1]
	v_pk_add_f16 v21, v27, v21
	v_add_f16_e32 v34, v74, v34
	v_mul_f16_e32 v69, 0xb94e, v8
	v_fmac_f16_e32 v79, 0xbbf1, v18
	v_pk_add_f16 v7, v17, v7
	v_pk_fma_f16 v17, 0x3a95, v18, v25 op_sel:[0,0,1] op_sel_hi:[0,1,0]
	v_pk_add_f16 v18, v22, v21
	v_pk_fma_f16 v21, 0xbb7b, v23, v24 op_sel:[0,0,1] op_sel_hi:[0,1,0] neg_lo:[0,1,0] neg_hi:[0,1,0]
	v_add_f16_e32 v34, v77, v34
	v_pk_mul_f16 v55, 0x3770b3a8, v8
	v_fmac_f16_e32 v43, 0xbbc4, v15
	v_pk_mul_f16 v15, 0x2fb7, v15 op_sel_hi:[0,1]
	v_pk_add_f16 v7, v17, v7
	v_pk_fma_f16 v17, 0xbb7b, v23, v24 op_sel:[0,0,1] op_sel_hi:[0,1,0]
	v_pk_add_f16 v18, v21, v18
	v_bfi_b32 v21, 0xffff, v69, v29
	v_add_f16_e32 v14, v47, v14
	v_add_f16_e32 v34, v79, v34
	v_fmac_f16_e32 v81, 0x33a8, v23
	v_pk_fma_f16 v22, 0x3bf1, v8, v15 op_sel:[0,0,1] op_sel_hi:[0,1,0] neg_lo:[0,1,0] neg_hi:[0,1,0]
	v_pk_add_f16 v7, v17, v7
	v_pack_b32_f16 v17, v65, v58
	v_bfi_b32 v23, 0xffff, v39, v55
	v_pk_add_f16 v21, v66, v21 neg_lo:[0,1] neg_hi:[0,1]
	v_pk_add_f16 v24, v52, v29
	v_add_f16_e32 v13, v42, v13
	v_add_f16_e32 v14, v46, v14
	v_fmac_f16_e32 v44, 0xb9fd, v26
	v_add_f16_e32 v34, v81, v34
	v_fmac_f16_e32 v84, 0x3a95, v8
	v_pk_fma_f16 v8, 0x3bf1, v8, v15 op_sel:[0,0,1] op_sel_hi:[0,1,0]
	v_mad_u32_u24 v4, v3, 48, v0
	v_pack_b32_f16 v15, v33, v16
	v_pk_add_f16 v16, v22, v18
	v_pk_add_f16 v17, v17, v23
	v_bfi_b32 v18, 0xffff, v21, v24
	v_add_f16_e32 v13, v40, v13
	v_add_f16_e32 v14, v44, v14
	;; [unrolled: 1-line block ×3, first 2 shown]
	v_pk_add_f16 v7, v8, v7
	ds_store_2addr_b32 v4, v10, v15 offset1:5
	v_pk_add_f16 v10, v18, v17
	v_add_f16_e32 v13, v48, v13
	v_add_f16_e32 v14, v43, v14
	v_alignbit_b32 v12, v12, v11, 16
	v_pack_b32_f16 v11, v30, v11
	v_pack_b32_f16 v8, v31, v34
	;; [unrolled: 1-line block ×3, first 2 shown]
	v_alignbit_b32 v15, v16, v7, 16
	v_alignbit_b32 v7, v7, v16, 16
	v_pack_b32_f16 v16, v62, v73
	v_pack_b32_f16 v17, v32, v76
	v_alignbit_b32 v9, v9, v10, 16
	v_pack_b32_f16 v10, v59, v10
	v_pack_b32_f16 v13, v14, v13
	ds_store_2addr_b32 v4, v11, v12 offset0:1 offset1:2
	ds_store_2addr_b32 v4, v21, v8 offset0:3 offset1:4
	;; [unrolled: 1-line block ×5, first 2 shown]
	ds_store_b32 v4, v13 offset:48
.LBB0_15:
	s_wait_alu 0xfffe
	s_or_b32 exec_lo, exec_lo, s1
	v_and_b32_e32 v4, 0xff, v3
	v_add_nc_u32_e32 v18, 0x9c, v3
	v_add_nc_u32_e32 v33, 0x138, v3
	;; [unrolled: 1-line block ×3, first 2 shown]
	s_load_b64 s[2:3], s[2:3], 0x0
	v_mul_lo_u16 v7, 0x4f, v4
	v_and_b32_e32 v31, 0xffff, v18
	v_and_b32_e32 v32, 0xffff, v33
	global_wb scope:SCOPE_SE
	s_wait_dscnt 0x0
	s_wait_kmcnt 0x0
	s_barrier_signal -1
	v_lshrrev_b16 v34, 10, v7
	v_and_b32_e32 v7, 0xffff, v8
	v_mul_u32_u24_e32 v9, 0x4ec5, v31
	v_mul_u32_u24_e32 v11, 0x4ec5, v32
	s_barrier_wait -1
	v_mul_lo_u16 v10, v34, 13
	v_mul_u32_u24_e32 v7, 0x4ec5, v7
	v_lshrrev_b32_e32 v35, 18, v9
	v_lshrrev_b32_e32 v36, 18, v11
	global_inv scope:SCOPE_SE
	v_sub_nc_u16 v9, v3, v10
	v_lshrrev_b32_e32 v37, 18, v7
	v_mul_lo_u16 v7, v35, 13
	v_mul_u32_u24_e32 v43, 0xa41b, v31
	v_mul_u32_u24_e32 v44, 0xa41b, v32
	v_and_b32_e32 v38, 0xff, v9
	v_mul_lo_u16 v9, v36, 13
	v_mul_lo_u16 v10, v37, 13
	v_sub_nc_u16 v7, v18, v7
	v_lshrrev_b32_e32 v43, 16, v43
	v_lshlrev_b32_e32 v11, 3, v38
	v_sub_nc_u16 v9, v33, v9
	v_sub_nc_u16 v10, v8, v10
	v_and_b32_e32 v39, 0xffff, v7
	v_lshrrev_b32_e32 v44, 16, v44
	global_load_b64 v[7:8], v11, s[8:9]
	v_and_b32_e32 v40, 0xffff, v9
	v_and_b32_e32 v41, 0xffff, v10
	v_lshlrev_b32_e32 v9, 3, v39
	v_sub_nc_u16 v52, v18, v43
	v_add_nc_u32_e32 v13, 0x900, v0
	v_lshlrev_b32_e32 v11, 3, v40
	v_lshlrev_b32_e32 v12, 3, v41
	v_and_b32_e32 v34, 0xffff, v34
	s_clause 0x2
	global_load_b64 v[9:10], v9, s[8:9]
	global_load_b64 v[14:15], v11, s[8:9]
	;; [unrolled: 1-line block ×3, first 2 shown]
	v_sub_nc_u16 v53, v33, v44
	v_lshrrev_b16 v52, 1, v52
	v_add_nc_u32_e32 v12, 0xe00, v0
	v_add_nc_u32_e32 v11, 0x1800, v0
	v_mul_lo_u16 v4, 0xa5, v4
	ds_load_2addr_b32 v[21:22], v0 offset1:156
	ds_load_2addr_b32 v[23:24], v19 offset0:56 offset1:212
	ds_load_2addr_b32 v[25:26], v20 offset0:96 offset1:252
	ds_load_u16 v42, v0 offset:3746
	ds_load_2addr_b32 v[27:28], v12 offset0:40 offset1:196
	ds_load_2addr_b32 v[29:30], v11 offset0:24 offset1:180
	;; [unrolled: 1-line block ×3, first 2 shown]
	v_mul_u32_u24_e32 v34, 0x9c, v34
	v_lshrrev_b16 v53, 1, v53
	v_lshlrev_b32_e32 v38, 2, v38
	v_add_nc_u16 v43, v52, v43
	v_lshrrev_b16 v4, 8, v4
	v_mul_u32_u24_e32 v35, 0x9c, v35
	v_add_nc_u16 v44, v53, v44
	v_add3_u32 v34, 0, v34, v38
	v_lshlrev_b32_e32 v38, 2, v39
	v_lshlrev_b32_e32 v39, 2, v40
	v_lshrrev_b16 v40, 5, v43
	v_sub_nc_u16 v45, v3, v4
	v_lshrrev_b16 v43, 5, v44
	v_mul_u32_u24_e32 v36, 0x9c, v36
	v_mul_u32_u24_e32 v37, 0x9c, v37
	v_mul_lo_u16 v44, v40, 39
	v_lshrrev_b16 v45, 1, v45
	v_lshlrev_b32_e32 v41, 2, v41
	v_mul_lo_u16 v53, v43, 39
	s_wait_dscnt 0x4
	v_lshrrev_b32_e32 v50, 16, v25
	v_sub_nc_u16 v18, v18, v44
	v_and_b32_e32 v45, 0x7f, v45
	s_wait_dscnt 0x0
	v_lshrrev_b32_e32 v57, 16, v31
	v_sub_nc_u16 v33, v33, v53
	v_add3_u32 v35, 0, v35, v38
	v_and_b32_e32 v38, 0xffff, v18
	v_add3_u32 v18, 0, v36, v39
	v_add3_u32 v36, 0, v37, v41
	v_add_nc_u16 v4, v45, v4
	v_lshrrev_b32_e32 v51, 16, v26
	v_lshrrev_b32_e32 v54, 16, v29
	;; [unrolled: 1-line block ×5, first 2 shown]
	v_lshrrev_b16 v4, 5, v4
	v_lshrrev_b32_e32 v46, 16, v21
	v_lshrrev_b32_e32 v47, 16, v22
	;; [unrolled: 1-line block ×4, first 2 shown]
	v_and_b32_e32 v4, 7, v4
	v_and_b32_e32 v33, 0xffff, v33
	v_mul_u32_u24_e32 v37, 3, v38
	global_wb scope:SCOPE_SE
	s_wait_loadcnt 0x0
	s_barrier_signal -1
	v_mul_lo_u16 v52, v4, 39
	s_barrier_wait -1
	global_inv scope:SCOPE_SE
	v_lshlrev_b32_e32 v37, 2, v37
	v_and_b32_e32 v4, 0xffff, v4
	v_sub_nc_u16 v44, v3, v52
	v_mul_u32_u24_e32 v52, 3, v33
	s_delay_alu instid0(VALU_DEP_3) | instskip(NEXT) | instid1(VALU_DEP_3)
	v_mul_u32_u24_e32 v4, 0x270, v4
	v_and_b32_e32 v44, 0xff, v44
	s_delay_alu instid0(VALU_DEP_1) | instskip(NEXT) | instid1(VALU_DEP_1)
	v_mul_u32_u24_e32 v39, 3, v44
	v_lshlrev_b32_e32 v39, 2, v39
	v_lshrrev_b32_e32 v41, 16, v7
	v_lshrrev_b32_e32 v53, 16, v8
	s_delay_alu instid0(VALU_DEP_2) | instskip(SKIP_1) | instid1(VALU_DEP_3)
	v_mul_f16_e32 v58, v41, v57
	v_mul_f16_e32 v41, v41, v31
	;; [unrolled: 1-line block ×4, first 2 shown]
	v_lshrrev_b32_e32 v60, 16, v9
	v_lshrrev_b32_e32 v61, 16, v10
	;; [unrolled: 1-line block ×6, first 2 shown]
	v_fma_f16 v31, v7, v31, -v58
	v_fmac_f16_e32 v41, v7, v57
	v_fma_f16 v7, v8, v25, -v59
	v_fmac_f16_e32 v53, v8, v50
	v_mul_f16_e32 v8, v60, v45
	v_mul_f16_e32 v25, v60, v32
	;; [unrolled: 1-line block ×12, first 2 shown]
	v_fma_f16 v8, v9, v32, -v8
	v_fmac_f16_e32 v25, v9, v45
	v_fma_f16 v9, v10, v26, -v50
	v_fmac_f16_e32 v57, v10, v51
	;; [unrolled: 2-line block ×6, first 2 shown]
	v_add_f16_e32 v17, v21, v31
	v_add_f16_e32 v26, v31, v7
	;; [unrolled: 1-line block ×4, first 2 shown]
	v_sub_f16_e32 v27, v41, v53
	v_sub_f16_e32 v30, v31, v7
	v_add_f16_e32 v7, v17, v7
	v_fma_f16 v17, -0.5, v26, v21
	v_add_f16_e32 v21, v28, v53
	v_fmac_f16_e32 v46, -0.5, v29
	v_add_f16_e32 v28, v8, v9
	v_sub_f16_e32 v29, v25, v57
	v_add_f16_e32 v31, v47, v25
	v_add_f16_e32 v25, v25, v57
	;; [unrolled: 1-line block ×7, first 2 shown]
	v_sub_f16_e32 v8, v8, v9
	v_add_f16_e32 v51, v24, v15
	v_add_f16_e32 v55, v49, v63
	v_sub_f16_e32 v15, v15, v16
	v_fmamk_f16 v58, v27, 0x3aee, v17
	v_fmac_f16_e32 v17, 0xbaee, v27
	v_fmamk_f16 v27, v30, 0xbaee, v46
	v_fmac_f16_e32 v22, -0.5, v28
	v_fmac_f16_e32 v47, -0.5, v25
	;; [unrolled: 1-line block ×3, first 2 shown]
	v_fmac_f16_e32 v46, 0x3aee, v30
	v_add_f16_e32 v32, v23, v10
	v_sub_f16_e32 v42, v59, v61
	v_add_f16_e32 v45, v48, v59
	v_sub_f16_e32 v10, v10, v14
	v_fma_f16 v23, -0.5, v41, v23
	v_fmac_f16_e32 v48, -0.5, v50
	v_sub_f16_e32 v54, v63, v65
	v_fmac_f16_e32 v24, -0.5, v53
	v_add_f16_e32 v9, v26, v9
	v_add_f16_e32 v26, v31, v57
	v_pack_b32_f16 v7, v7, v21
	v_fmamk_f16 v21, v29, 0x3aee, v22
	v_fmac_f16_e32 v22, 0xbaee, v29
	v_fmamk_f16 v29, v8, 0xbaee, v47
	v_fmamk_f16 v31, v15, 0xbaee, v49
	v_fmac_f16_e32 v49, 0x3aee, v15
	v_pack_b32_f16 v15, v58, v27
	v_fmac_f16_e32 v47, 0x3aee, v8
	v_pack_b32_f16 v17, v17, v46
	v_add_f16_e32 v14, v32, v14
	v_add_f16_e32 v25, v45, v61
	v_fmamk_f16 v8, v42, 0x3aee, v23
	v_fmamk_f16 v30, v10, 0xbaee, v48
	v_fmac_f16_e32 v23, 0xbaee, v42
	v_fmac_f16_e32 v48, 0x3aee, v10
	v_add_f16_e32 v16, v51, v16
	v_add_f16_e32 v28, v55, v65
	v_fmamk_f16 v10, v54, 0x3aee, v24
	v_fmac_f16_e32 v24, 0xbaee, v54
	v_pack_b32_f16 v9, v9, v26
	ds_store_2addr_b32 v34, v7, v15 offset1:13
	ds_store_b32 v34, v17 offset:104
	v_pack_b32_f16 v7, v21, v29
	v_pack_b32_f16 v15, v22, v47
	;; [unrolled: 1-line block ×8, first 2 shown]
	ds_store_2addr_b32 v35, v9, v7 offset1:13
	ds_store_b32 v35, v15 offset:104
	ds_store_2addr_b32 v18, v14, v8 offset1:13
	ds_store_b32 v18, v17 offset:104
	;; [unrolled: 2-line block ×3, first 2 shown]
	v_lshlrev_b32_e32 v10, 2, v52
	global_wb scope:SCOPE_SE
	s_wait_dscnt 0x0
	s_barrier_signal -1
	s_barrier_wait -1
	global_inv scope:SCOPE_SE
	s_clause 0x2
	global_load_b96 v[7:9], v39, s[8:9] offset:104
	global_load_b96 v[14:16], v37, s[8:9] offset:104
	;; [unrolled: 1-line block ×3, first 2 shown]
	v_and_b32_e32 v28, 0xffff, v43
	ds_load_2addr_b32 v[17:18], v11 offset0:24 offset1:180
	ds_load_2addr_b32 v[24:25], v13 offset0:48 offset1:204
	;; [unrolled: 1-line block ×3, first 2 shown]
	v_lshlrev_b32_e32 v37, 2, v33
	v_and_b32_e32 v10, 0xffff, v40
	v_lshlrev_b32_e32 v36, 2, v38
	v_mul_u32_u24_e32 v35, 0x270, v28
	ds_load_2addr_b32 v[28:29], v19 offset0:56 offset1:212
	ds_load_2addr_b32 v[30:31], v12 offset0:40 offset1:196
	ds_load_2addr_b32 v[32:33], v0 offset1:156
	v_mul_u32_u24_e32 v10, 0x270, v10
	v_lshlrev_b32_e32 v38, 2, v44
	v_add3_u32 v35, 0, v35, v37
	v_mul_u32_u24_e32 v34, 5, v3
	global_wb scope:SCOPE_SE
	s_wait_loadcnt_dscnt 0x0
	v_add3_u32 v10, 0, v10, v36
	v_add3_u32 v4, 0, v4, v38
	s_barrier_signal -1
	v_lshlrev_b32_e32 v34, 2, v34
	s_barrier_wait -1
	global_inv scope:SCOPE_SE
	v_lshrrev_b32_e32 v36, 16, v17
	v_lshrrev_b32_e32 v43, 16, v24
	;; [unrolled: 1-line block ×21, first 2 shown]
	v_mul_f16_e32 v57, v48, v40
	v_mul_f16_e32 v48, v48, v29
	;; [unrolled: 1-line block ×18, first 2 shown]
	v_fma_f16 v29, v7, v29, -v57
	v_fmac_f16_e32 v48, v7, v40
	v_fma_f16 v7, v8, v30, -v58
	v_fmac_f16_e32 v49, v8, v41
	;; [unrolled: 2-line block ×9, first 2 shown]
	v_sub_f16_e32 v7, v32, v7
	v_sub_f16_e32 v21, v45, v49
	;; [unrolled: 1-line block ×12, first 2 shown]
	v_fma_f16 v27, v32, 2.0, -v7
	v_fma_f16 v30, v45, 2.0, -v21
	;; [unrolled: 1-line block ×12, first 2 shown]
	v_sub_f16_e32 v22, v7, v22
	v_add_f16_e32 v8, v21, v8
	v_sub_f16_e32 v24, v14, v24
	v_add_f16_e32 v15, v23, v15
	v_sub_f16_e32 v29, v27, v29
	v_sub_f16_e32 v31, v30, v31
	;; [unrolled: 1-line block ×3, first 2 shown]
	v_add_f16_e32 v18, v25, v18
	v_sub_f16_e32 v9, v32, v9
	v_sub_f16_e32 v36, v33, v36
	;; [unrolled: 1-line block ×4, first 2 shown]
	v_fma_f16 v7, v7, 2.0, -v22
	v_fma_f16 v21, v21, 2.0, -v8
	;; [unrolled: 1-line block ×4, first 2 shown]
	v_pack_b32_f16 v8, v22, v8
	v_pack_b32_f16 v15, v24, v15
	v_fma_f16 v22, v27, 2.0, -v29
	v_fma_f16 v24, v30, 2.0, -v31
	;; [unrolled: 1-line block ×4, first 2 shown]
	v_pack_b32_f16 v18, v26, v18
	v_fma_f16 v26, v32, 2.0, -v9
	v_fma_f16 v27, v33, 2.0, -v36
	;; [unrolled: 1-line block ×4, first 2 shown]
	v_pack_b32_f16 v7, v7, v21
	v_pack_b32_f16 v21, v29, v31
	;; [unrolled: 1-line block ×9, first 2 shown]
	ds_store_2addr_b32 v4, v21, v8 offset0:78 offset1:117
	ds_store_2addr_b32 v4, v22, v7 offset1:39
	ds_store_2addr_b32 v10, v23, v14 offset1:39
	ds_store_2addr_b32 v10, v9, v15 offset0:78 offset1:117
	ds_store_2addr_b32 v35, v24, v17 offset1:39
	ds_store_2addr_b32 v35, v16, v18 offset0:78 offset1:117
	v_mov_b32_e32 v4, 0
	global_wb scope:SCOPE_SE
	s_wait_dscnt 0x0
	s_barrier_signal -1
	s_barrier_wait -1
	global_inv scope:SCOPE_SE
	s_clause 0x1
	global_load_b128 v[14:17], v34, s[8:9] offset:572
	global_load_b32 v18, v34, s[8:9] offset:588
	ds_load_2addr_b32 v[21:22], v0 offset1:156
	ds_load_2addr_b32 v[23:24], v19 offset0:56 offset1:212
	ds_load_2addr_b32 v[25:26], v13 offset0:48 offset1:204
	;; [unrolled: 1-line block ×5, first 2 shown]
	v_lshlrev_b64_e32 v[7:8], 2, v[3:4]
	global_wb scope:SCOPE_SE
	s_wait_loadcnt_dscnt 0x0
	s_barrier_signal -1
	s_barrier_wait -1
	global_inv scope:SCOPE_SE
	v_add_co_u32 v9, s0, s8, v7
	s_wait_alu 0xf1ff
	v_add_co_ci_u32_e64 v10, s0, s9, v8, s0
	v_cmp_ne_u32_e64 s0, 0, v3
	v_lshrrev_b32_e32 v34, 16, v24
	v_lshrrev_b32_e32 v40, 16, v25
	;; [unrolled: 1-line block ×17, first 2 shown]
	v_mul_f16_e32 v51, v45, v40
	v_mul_f16_e32 v52, v45, v25
	;; [unrolled: 1-line block ×20, first 2 shown]
	v_fma_f16 v25, v15, v25, -v51
	v_fmac_f16_e32 v52, v15, v40
	v_fma_f16 v27, v16, v27, -v53
	v_fmac_f16_e32 v54, v16, v41
	;; [unrolled: 2-line block ×10, first 2 shown]
	v_add_f16_e32 v26, v25, v29
	v_add_f16_e32 v32, v52, v56
	;; [unrolled: 1-line block ×4, first 2 shown]
	v_sub_f16_e32 v28, v52, v56
	v_add_f16_e32 v30, v4, v52
	v_add_f16_e32 v37, v50, v54
	;; [unrolled: 1-line block ×4, first 2 shown]
	v_sub_f16_e32 v51, v46, v48
	v_add_f16_e32 v52, v44, v46
	v_add_f16_e32 v46, v46, v48
	;; [unrolled: 1-line block ×3, first 2 shown]
	v_sub_f16_e32 v25, v25, v29
	v_add_f16_e32 v34, v23, v27
	v_sub_f16_e32 v36, v54, v58
	v_sub_f16_e32 v27, v27, v31
	v_add_f16_e32 v39, v22, v14
	v_sub_f16_e32 v41, v45, v47
	v_add_f16_e32 v42, v33, v45
	v_add_f16_e32 v45, v24, v15
	v_fma_f16 v21, -0.5, v26, v21
	v_fmac_f16_e32 v4, -0.5, v32
	v_fmac_f16_e32 v23, -0.5, v35
	;; [unrolled: 1-line block ×3, first 2 shown]
	v_add_f16_e32 v40, v14, v16
	v_sub_f16_e32 v14, v14, v16
	v_sub_f16_e32 v15, v15, v17
	v_add_f16_e32 v26, v30, v56
	v_add_f16_e32 v30, v37, v58
	v_fmac_f16_e32 v33, -0.5, v43
	v_fmac_f16_e32 v24, -0.5, v49
	;; [unrolled: 1-line block ×3, first 2 shown]
	v_add_f16_e32 v18, v18, v29
	v_add_f16_e32 v29, v34, v31
	;; [unrolled: 1-line block ×6, first 2 shown]
	v_fmamk_f16 v34, v28, 0x3aee, v21
	v_fmac_f16_e32 v21, 0xbaee, v28
	v_fmamk_f16 v28, v25, 0xbaee, v4
	v_fmac_f16_e32 v4, 0x3aee, v25
	v_fmamk_f16 v25, v36, 0x3aee, v23
	v_fmamk_f16 v35, v27, 0xbaee, v50
	v_fmac_f16_e32 v23, 0xbaee, v36
	v_fmac_f16_e32 v50, 0x3aee, v27
	v_fmac_f16_e32 v22, -0.5, v40
	v_add_f16_e32 v36, v26, v30
	v_sub_f16_e32 v26, v26, v30
	v_fmamk_f16 v30, v14, 0xbaee, v33
	v_fmac_f16_e32 v33, 0x3aee, v14
	v_fmamk_f16 v14, v51, 0x3aee, v24
	v_fmamk_f16 v37, v15, 0xbaee, v44
	v_fmac_f16_e32 v24, 0xbaee, v51
	v_fmac_f16_e32 v44, 0x3aee, v15
	v_add_f16_e32 v15, v16, v17
	v_add_f16_e32 v38, v31, v32
	v_sub_f16_e32 v16, v16, v17
	v_sub_f16_e32 v17, v31, v32
	v_mul_f16_e32 v31, 0x3aee, v35
	v_mul_f16_e32 v39, 0xbaee, v25
	v_mul_f16_e32 v32, -0.5, v23
	v_mul_f16_e32 v40, -0.5, v50
	v_add_f16_e32 v27, v18, v29
	v_sub_f16_e32 v18, v18, v29
	v_fmamk_f16 v29, v41, 0x3aee, v22
	v_fmac_f16_e32 v22, 0xbaee, v41
	v_mul_f16_e32 v41, 0x3aee, v37
	v_mul_f16_e32 v43, 0xbaee, v14
	v_mul_f16_e32 v42, -0.5, v24
	v_mul_f16_e32 v45, -0.5, v44
	v_fmac_f16_e32 v31, 0.5, v25
	v_fmac_f16_e32 v39, 0.5, v35
	v_fmac_f16_e32 v32, 0x3aee, v50
	v_fmac_f16_e32 v40, 0xbaee, v23
	v_fmac_f16_e32 v41, 0.5, v14
	v_fmac_f16_e32 v43, 0.5, v37
	v_fmac_f16_e32 v42, 0x3aee, v44
	v_fmac_f16_e32 v45, 0xbaee, v24
	v_add_f16_e32 v14, v34, v31
	v_add_f16_e32 v23, v28, v39
	v_pack_b32_f16 v16, v16, v17
	v_add_f16_e32 v17, v21, v32
	v_add_f16_e32 v24, v4, v40
	v_pack_b32_f16 v18, v18, v26
	v_sub_f16_e32 v25, v34, v31
	v_sub_f16_e32 v21, v21, v32
	;; [unrolled: 1-line block ×4, first 2 shown]
	v_add_f16_e32 v28, v29, v41
	v_add_f16_e32 v32, v30, v43
	;; [unrolled: 1-line block ×4, first 2 shown]
	v_pack_b32_f16 v27, v27, v36
	v_sub_f16_e32 v29, v29, v41
	v_sub_f16_e32 v22, v22, v42
	;; [unrolled: 1-line block ×4, first 2 shown]
	v_pack_b32_f16 v14, v14, v23
	v_pack_b32_f16 v17, v17, v24
	;; [unrolled: 1-line block ×9, first 2 shown]
	ds_store_2addr_b32 v0, v27, v14 offset1:156
	ds_store_2addr_b32 v19, v17, v18 offset0:56 offset1:212
	ds_store_2addr_b32 v13, v23, v4 offset0:48 offset1:204
	;; [unrolled: 1-line block ×5, first 2 shown]
	global_wb scope:SCOPE_SE
	s_wait_dscnt 0x0
	s_barrier_signal -1
	s_barrier_wait -1
	global_inv scope:SCOPE_SE
	s_clause 0x5
	global_load_b32 v4, v[9:10], off offset:3692
	global_load_b32 v18, v[9:10], off offset:4316
	;; [unrolled: 1-line block ×6, first 2 shown]
	ds_load_2addr_b32 v[14:15], v12 offset0:40 offset1:196
	ds_load_2addr_b32 v[16:17], v20 offset0:96 offset1:252
	;; [unrolled: 1-line block ×3, first 2 shown]
	ds_load_2addr_b32 v[23:24], v0 offset1:156
	ds_load_2addr_b32 v[25:26], v19 offset0:56 offset1:212
	ds_load_2addr_b32 v[27:28], v13 offset0:48 offset1:204
	global_wb scope:SCOPE_SE
	s_wait_loadcnt_dscnt 0x0
	s_barrier_signal -1
	s_barrier_wait -1
	global_inv scope:SCOPE_SE
	v_pk_mul_f16 v33, v4, v14 op_sel:[0,1]
	v_pk_mul_f16 v34, v18, v15 op_sel:[0,1]
	;; [unrolled: 1-line block ×6, first 2 shown]
	v_pk_fma_f16 v39, v4, v14, v33 op_sel:[0,0,1] op_sel_hi:[1,1,0] neg_lo:[0,0,1] neg_hi:[0,0,1]
	v_pk_fma_f16 v4, v4, v14, v33 op_sel:[0,0,1] op_sel_hi:[1,0,0]
	v_pk_fma_f16 v14, v18, v15, v34 op_sel:[0,0,1] op_sel_hi:[1,1,0] neg_lo:[0,0,1] neg_hi:[0,0,1]
	v_pk_fma_f16 v15, v18, v15, v34 op_sel:[0,0,1] op_sel_hi:[1,0,0]
	;; [unrolled: 2-line block ×6, first 2 shown]
	v_bfi_b32 v4, 0xffff, v39, v4
	v_bfi_b32 v14, 0xffff, v14, v15
	;; [unrolled: 1-line block ×6, first 2 shown]
	v_pk_add_f16 v4, v23, v4 neg_lo:[0,1] neg_hi:[0,1]
	v_pk_add_f16 v14, v24, v14 neg_lo:[0,1] neg_hi:[0,1]
	;; [unrolled: 1-line block ×6, first 2 shown]
	v_pk_fma_f16 v21, v23, 2.0, v4 op_sel_hi:[1,0,1] neg_lo:[0,0,1] neg_hi:[0,0,1]
	v_pk_fma_f16 v22, v24, 2.0, v14 op_sel_hi:[1,0,1] neg_lo:[0,0,1] neg_hi:[0,0,1]
	;; [unrolled: 1-line block ×6, first 2 shown]
	ds_store_2addr_b32 v12, v4, v14 offset0:40 offset1:196
	ds_store_2addr_b32 v20, v15, v16 offset0:96 offset1:252
	;; [unrolled: 1-line block ×3, first 2 shown]
	ds_store_2addr_b32 v0, v21, v22 offset1:156
	ds_store_2addr_b32 v19, v23, v24 offset0:56 offset1:212
	ds_store_2addr_b32 v13, v25, v26 offset0:48 offset1:204
	global_wb scope:SCOPE_SE
	s_wait_dscnt 0x0
	s_barrier_signal -1
	s_barrier_wait -1
	global_inv scope:SCOPE_SE
	ds_load_b32 v14, v0
	v_lshlrev_b32_e32 v4, 2, v3
                                        ; implicit-def: $vgpr13
                                        ; implicit-def: $vgpr12
                                        ; implicit-def: $vgpr11
	s_delay_alu instid0(VALU_DEP_1)
	v_sub_nc_u32_e32 v4, 0, v4
	s_and_saveexec_b32 s1, s0
	s_wait_alu 0xfffe
	s_xor_b32 s0, exec_lo, s1
	s_cbranch_execz .LBB0_17
; %bb.16:
	global_load_b32 v9, v[9:10], off offset:7436
	ds_load_b32 v10, v4 offset:7488
	s_wait_dscnt 0x0
	v_pk_add_f16 v11, v14, v10 neg_lo:[0,1] neg_hi:[0,1]
	v_pk_add_f16 v10, v10, v14
	s_delay_alu instid0(VALU_DEP_1) | instskip(SKIP_1) | instid1(VALU_DEP_2)
	v_bfi_b32 v12, 0xffff, v11, v10
	v_bfi_b32 v10, 0xffff, v10, v11
	v_pk_mul_f16 v12, v12, 0.5 op_sel_hi:[1,0]
	s_delay_alu instid0(VALU_DEP_2) | instskip(SKIP_1) | instid1(VALU_DEP_2)
	v_pk_mul_f16 v13, v10, 0.5 op_sel_hi:[1,0]
	s_wait_loadcnt 0x0
	v_pk_mul_f16 v11, v9, v12 op_sel:[1,0]
	v_pk_mul_f16 v9, v9, v12 op_sel_hi:[0,1]
	s_delay_alu instid0(VALU_DEP_3) | instskip(NEXT) | instid1(VALU_DEP_3)
	v_lshrrev_b32_e32 v12, 16, v13
	v_pk_fma_f16 v10, v10, 0.5, v11 op_sel_hi:[1,0,1]
	v_lshrrev_b32_e32 v14, 16, v11
	v_sub_f16_e32 v11, v13, v11
	v_lshrrev_b32_e32 v13, 16, v9
	s_delay_alu instid0(VALU_DEP_4) | instskip(SKIP_2) | instid1(VALU_DEP_4)
	v_pk_add_f16 v15, v10, v9 op_sel:[0,1] op_sel_hi:[1,0]
	v_pk_add_f16 v10, v10, v9 op_sel:[0,1] op_sel_hi:[1,0] neg_lo:[0,1] neg_hi:[0,1]
	v_sub_f16_e32 v14, v14, v12
	v_sub_f16_e32 v12, v11, v13
	s_delay_alu instid0(VALU_DEP_3) | instskip(NEXT) | instid1(VALU_DEP_3)
	v_bfi_b32 v13, 0xffff, v15, v10
	v_sub_f16_e32 v11, v14, v9
                                        ; implicit-def: $vgpr14
.LBB0_17:
	s_wait_alu 0xfffe
	s_and_not1_saveexec_b32 s0, s0
	s_cbranch_execz .LBB0_19
; %bb.18:
	v_mov_b32_e32 v11, 0
	s_wait_dscnt 0x0
	s_wait_alu 0xfffe
	v_alignbit_b32 v10, s0, v14, 16
	v_lshrrev_b32_e32 v12, 16, v14
	ds_load_u16 v9, v11 offset:3746
	v_pk_add_f16 v10, v10, v14
	v_sub_f16_e32 v12, v14, v12
	s_delay_alu instid0(VALU_DEP_2)
	v_pack_b32_f16 v13, v10, 0
	s_wait_dscnt 0x0
	v_xor_b32_e32 v9, 0x8000, v9
	ds_store_b16 v11, v9 offset:3746
.LBB0_19:
	s_wait_alu 0xfffe
	s_or_b32 exec_lo, exec_lo, s0
	s_add_nc_u64 s[0:1], s[8:9], 0x1d0c
	s_wait_alu 0xfffe
	v_add_co_u32 v7, s0, s0, v7
	s_wait_alu 0xf1ff
	v_add_co_ci_u32_e64 v8, s0, s1, v8, s0
	s_clause 0x1
	global_load_b32 v9, v[7:8], off offset:624
	global_load_b32 v10, v[7:8], off offset:1248
	s_wait_dscnt 0x0
	s_clause 0x2
	global_load_b32 v14, v[7:8], off offset:1872
	global_load_b32 v15, v[7:8], off offset:2496
	;; [unrolled: 1-line block ×3, first 2 shown]
	ds_store_b16 v4, v11 offset:7490
	ds_store_b32 v0, v13
	ds_store_b16 v4, v12 offset:7488
	ds_load_b32 v8, v0 offset:624
	ds_load_b32 v11, v4 offset:6864
	s_wait_dscnt 0x0
	v_pk_add_f16 v12, v8, v11 neg_lo:[0,1] neg_hi:[0,1]
	v_pk_add_f16 v8, v8, v11
	s_delay_alu instid0(VALU_DEP_1) | instskip(SKIP_1) | instid1(VALU_DEP_2)
	v_bfi_b32 v11, 0xffff, v12, v8
	v_bfi_b32 v8, 0xffff, v8, v12
	v_pk_mul_f16 v11, v11, 0.5 op_sel_hi:[1,0]
	s_delay_alu instid0(VALU_DEP_2) | instskip(NEXT) | instid1(VALU_DEP_1)
	v_pk_mul_f16 v12, v8, 0.5 op_sel_hi:[1,0]
	v_lshrrev_b32_e32 v16, 16, v12
	s_wait_loadcnt 0x4
	s_delay_alu instid0(VALU_DEP_3) | instskip(SKIP_1) | instid1(VALU_DEP_2)
	v_pk_mul_f16 v13, v9, v11 op_sel:[1,0]
	v_pk_mul_f16 v9, v9, v11 op_sel_hi:[0,1]
	v_lshrrev_b32_e32 v11, 16, v13
	v_pk_fma_f16 v8, v8, 0.5, v13 op_sel_hi:[1,0,1]
	v_sub_f16_e32 v12, v12, v13
	s_delay_alu instid0(VALU_DEP_3) | instskip(NEXT) | instid1(VALU_DEP_3)
	v_sub_f16_e32 v11, v11, v16
	v_pk_add_f16 v13, v8, v9 op_sel:[0,1] op_sel_hi:[1,0]
	v_pk_add_f16 v8, v8, v9 op_sel:[0,1] op_sel_hi:[1,0] neg_lo:[0,1] neg_hi:[0,1]
	v_lshrrev_b32_e32 v16, 16, v9
	s_delay_alu instid0(VALU_DEP_4) | instskip(NEXT) | instid1(VALU_DEP_3)
	v_sub_f16_e32 v9, v11, v9
	v_bfi_b32 v8, 0xffff, v13, v8
	s_delay_alu instid0(VALU_DEP_3)
	v_sub_f16_e32 v11, v12, v16
	ds_store_b16 v4, v9 offset:6866
	ds_store_b32 v0, v8 offset:624
	ds_store_b16 v4, v11 offset:6864
	ds_load_b32 v8, v0 offset:1248
	ds_load_b32 v9, v4 offset:6240
	s_wait_dscnt 0x0
	v_pk_add_f16 v11, v8, v9 neg_lo:[0,1] neg_hi:[0,1]
	v_pk_add_f16 v8, v8, v9
	s_delay_alu instid0(VALU_DEP_1) | instskip(SKIP_1) | instid1(VALU_DEP_2)
	v_bfi_b32 v9, 0xffff, v11, v8
	v_bfi_b32 v8, 0xffff, v8, v11
	v_pk_mul_f16 v9, v9, 0.5 op_sel_hi:[1,0]
	s_delay_alu instid0(VALU_DEP_2) | instskip(SKIP_1) | instid1(VALU_DEP_2)
	v_pk_mul_f16 v11, v8, 0.5 op_sel_hi:[1,0]
	s_wait_loadcnt 0x3
	v_pk_mul_f16 v12, v10, v9 op_sel:[1,0]
	v_pk_mul_f16 v9, v10, v9 op_sel_hi:[0,1]
	s_delay_alu instid0(VALU_DEP_3) | instskip(NEXT) | instid1(VALU_DEP_3)
	v_lshrrev_b32_e32 v10, 16, v11
	v_lshrrev_b32_e32 v13, 16, v12
	v_pk_fma_f16 v8, v8, 0.5, v12 op_sel_hi:[1,0,1]
	v_sub_f16_e32 v11, v11, v12
	s_delay_alu instid0(VALU_DEP_3) | instskip(NEXT) | instid1(VALU_DEP_3)
	v_sub_f16_e32 v10, v13, v10
	v_pk_add_f16 v12, v8, v9 op_sel:[0,1] op_sel_hi:[1,0]
	v_pk_add_f16 v8, v8, v9 op_sel:[0,1] op_sel_hi:[1,0] neg_lo:[0,1] neg_hi:[0,1]
	v_lshrrev_b32_e32 v13, 16, v9
	s_delay_alu instid0(VALU_DEP_4) | instskip(NEXT) | instid1(VALU_DEP_3)
	v_sub_f16_e32 v9, v10, v9
	v_bfi_b32 v8, 0xffff, v12, v8
	s_delay_alu instid0(VALU_DEP_3)
	v_sub_f16_e32 v10, v11, v13
	ds_store_b16 v4, v9 offset:6242
	ds_store_b32 v0, v8 offset:1248
	ds_store_b16 v4, v10 offset:6240
	ds_load_b32 v8, v0 offset:1872
	ds_load_b32 v9, v4 offset:5616
	s_wait_dscnt 0x0
	v_pk_add_f16 v10, v8, v9 neg_lo:[0,1] neg_hi:[0,1]
	v_pk_add_f16 v8, v8, v9
	s_delay_alu instid0(VALU_DEP_1) | instskip(SKIP_1) | instid1(VALU_DEP_2)
	v_bfi_b32 v9, 0xffff, v10, v8
	v_bfi_b32 v8, 0xffff, v8, v10
	v_pk_mul_f16 v9, v9, 0.5 op_sel_hi:[1,0]
	s_delay_alu instid0(VALU_DEP_2) | instskip(SKIP_1) | instid1(VALU_DEP_2)
	v_pk_mul_f16 v10, v8, 0.5 op_sel_hi:[1,0]
	s_wait_loadcnt 0x2
	v_pk_mul_f16 v11, v14, v9 op_sel:[1,0]
	s_delay_alu instid0(VALU_DEP_2) | instskip(SKIP_1) | instid1(VALU_DEP_3)
	v_lshrrev_b32_e32 v12, 16, v10
	v_pk_mul_f16 v9, v14, v9 op_sel_hi:[0,1]
	v_lshrrev_b32_e32 v13, 16, v11
	v_pk_fma_f16 v8, v8, 0.5, v11 op_sel_hi:[1,0,1]
	v_sub_f16_e32 v10, v10, v11
	s_delay_alu instid0(VALU_DEP_3) | instskip(NEXT) | instid1(VALU_DEP_3)
	v_sub_f16_e32 v12, v13, v12
	v_pk_add_f16 v11, v8, v9 op_sel:[0,1] op_sel_hi:[1,0]
	v_pk_add_f16 v8, v8, v9 op_sel:[0,1] op_sel_hi:[1,0] neg_lo:[0,1] neg_hi:[0,1]
	v_lshrrev_b32_e32 v13, 16, v9
	s_delay_alu instid0(VALU_DEP_4) | instskip(NEXT) | instid1(VALU_DEP_3)
	v_sub_f16_e32 v9, v12, v9
	v_bfi_b32 v8, 0xffff, v11, v8
	s_delay_alu instid0(VALU_DEP_3)
	v_sub_f16_e32 v10, v10, v13
	ds_store_b16 v4, v9 offset:5618
	ds_store_b32 v0, v8 offset:1872
	ds_store_b16 v4, v10 offset:5616
	ds_load_b32 v8, v0 offset:2496
	ds_load_b32 v9, v4 offset:4992
	s_wait_dscnt 0x0
	v_pk_add_f16 v10, v8, v9 neg_lo:[0,1] neg_hi:[0,1]
	v_pk_add_f16 v8, v8, v9
	s_delay_alu instid0(VALU_DEP_1) | instskip(SKIP_1) | instid1(VALU_DEP_2)
	v_bfi_b32 v9, 0xffff, v10, v8
	v_bfi_b32 v8, 0xffff, v8, v10
	v_pk_mul_f16 v9, v9, 0.5 op_sel_hi:[1,0]
	s_delay_alu instid0(VALU_DEP_2) | instskip(SKIP_1) | instid1(VALU_DEP_2)
	v_pk_mul_f16 v8, v8, 0.5 op_sel_hi:[1,0]
	s_wait_loadcnt 0x1
	v_pk_mul_f16 v11, v15, v9 op_sel_hi:[0,1]
	s_delay_alu instid0(VALU_DEP_2) | instskip(SKIP_2) | instid1(VALU_DEP_3)
	v_pk_fma_f16 v10, v15, v9, v8 op_sel:[1,0,0]
	v_pk_fma_f16 v12, v15, v9, v8 op_sel:[1,0,0] neg_lo:[1,0,0] neg_hi:[1,0,0]
	v_pk_fma_f16 v8, v15, v9, v8 op_sel:[1,0,0] neg_lo:[0,0,1] neg_hi:[0,0,1]
	v_pk_add_f16 v9, v10, v11 op_sel:[0,1] op_sel_hi:[1,0]
	v_pk_add_f16 v10, v10, v11 op_sel:[0,1] op_sel_hi:[1,0] neg_lo:[0,1] neg_hi:[0,1]
	s_delay_alu instid0(VALU_DEP_4) | instskip(NEXT) | instid1(VALU_DEP_4)
	v_pk_add_f16 v12, v12, v11 op_sel:[0,1] op_sel_hi:[1,0] neg_lo:[0,1] neg_hi:[0,1]
	v_pk_add_f16 v8, v8, v11 op_sel:[0,1] op_sel_hi:[1,0] neg_lo:[0,1] neg_hi:[0,1]
	s_delay_alu instid0(VALU_DEP_3) | instskip(NEXT) | instid1(VALU_DEP_2)
	v_bfi_b32 v9, 0xffff, v9, v10
	v_bfi_b32 v8, 0xffff, v12, v8
	ds_store_b32 v0, v9 offset:2496
	ds_store_b32 v4, v8 offset:4992
	ds_load_b32 v8, v0 offset:3120
	ds_load_b32 v9, v4 offset:4368
	s_wait_dscnt 0x0
	v_pk_add_f16 v10, v8, v9 neg_lo:[0,1] neg_hi:[0,1]
	v_pk_add_f16 v8, v8, v9
	s_delay_alu instid0(VALU_DEP_1) | instskip(SKIP_1) | instid1(VALU_DEP_2)
	v_bfi_b32 v9, 0xffff, v10, v8
	v_bfi_b32 v8, 0xffff, v8, v10
	v_pk_mul_f16 v9, v9, 0.5 op_sel_hi:[1,0]
	s_delay_alu instid0(VALU_DEP_2) | instskip(SKIP_1) | instid1(VALU_DEP_2)
	v_pk_mul_f16 v8, v8, 0.5 op_sel_hi:[1,0]
	s_wait_loadcnt 0x0
	v_pk_mul_f16 v11, v7, v9 op_sel_hi:[0,1]
	s_delay_alu instid0(VALU_DEP_2) | instskip(SKIP_2) | instid1(VALU_DEP_3)
	v_pk_fma_f16 v10, v7, v9, v8 op_sel:[1,0,0]
	v_pk_fma_f16 v12, v7, v9, v8 op_sel:[1,0,0] neg_lo:[1,0,0] neg_hi:[1,0,0]
	v_pk_fma_f16 v7, v7, v9, v8 op_sel:[1,0,0] neg_lo:[0,0,1] neg_hi:[0,0,1]
	v_pk_add_f16 v8, v10, v11 op_sel:[0,1] op_sel_hi:[1,0]
	v_pk_add_f16 v9, v10, v11 op_sel:[0,1] op_sel_hi:[1,0] neg_lo:[0,1] neg_hi:[0,1]
	s_delay_alu instid0(VALU_DEP_4) | instskip(NEXT) | instid1(VALU_DEP_4)
	v_pk_add_f16 v10, v12, v11 op_sel:[0,1] op_sel_hi:[1,0] neg_lo:[0,1] neg_hi:[0,1]
	v_pk_add_f16 v7, v7, v11 op_sel:[0,1] op_sel_hi:[1,0] neg_lo:[0,1] neg_hi:[0,1]
	s_delay_alu instid0(VALU_DEP_3) | instskip(NEXT) | instid1(VALU_DEP_2)
	v_bfi_b32 v8, 0xffff, v8, v9
	v_bfi_b32 v7, 0xffff, v10, v7
	ds_store_b32 v0, v8 offset:3120
	ds_store_b32 v4, v7 offset:4368
	global_wb scope:SCOPE_SE
	s_wait_dscnt 0x0
	s_barrier_signal -1
	s_barrier_wait -1
	global_inv scope:SCOPE_SE
	s_and_saveexec_b32 s0, vcc_lo
	s_cbranch_execz .LBB0_22
; %bb.20:
	v_mul_lo_u32 v0, s3, v5
	v_mul_lo_u32 v7, s2, v6
	v_mad_co_u64_u32 v[5:6], null, s2, v5, 0
	v_mov_b32_e32 v4, 0
	v_lshl_add_u32 v31, v3, 2, 0
	v_add_nc_u32_e32 v21, 0x30c, v3
	v_add_nc_u32_e32 v23, 0x3a8, v3
	;; [unrolled: 1-line block ×4, first 2 shown]
	v_add3_u32 v6, v6, v7, v0
	v_add_nc_u32_e32 v7, 0x9c, v3
	v_lshlrev_b64_e32 v[0:1], 2, v[1:2]
	v_lshlrev_b64_e32 v[13:14], 2, v[3:4]
	v_dual_mov_b32 v8, v4 :: v_dual_add_nc_u32 v9, 0x138, v3
	v_lshlrev_b64_e32 v[5:6], 2, v[5:6]
	v_mov_b32_e32 v10, v4
	v_add_nc_u32_e32 v2, 0x400, v31
	v_mov_b32_e32 v18, v4
	ds_load_2addr_b32 v[11:12], v31 offset1:156
	v_mov_b32_e32 v22, v4
	v_add_co_u32 v15, vcc_lo, s6, v5
	s_wait_alu 0xfffd
	v_add_co_ci_u32_e32 v16, vcc_lo, s7, v6, vcc_lo
	v_lshlrev_b64_e32 v[5:6], 2, v[7:8]
	s_delay_alu instid0(VALU_DEP_3) | instskip(SKIP_1) | instid1(VALU_DEP_3)
	v_add_co_u32 v0, vcc_lo, v15, v0
	s_wait_alu 0xfffd
	v_add_co_ci_u32_e32 v1, vcc_lo, v16, v1, vcc_lo
	v_lshlrev_b64_e32 v[7:8], 2, v[9:10]
	s_delay_alu instid0(VALU_DEP_3) | instskip(SKIP_1) | instid1(VALU_DEP_3)
	v_add_co_u32 v9, vcc_lo, v0, v13
	s_wait_alu 0xfffd
	v_add_co_ci_u32_e32 v10, vcc_lo, v1, v14, vcc_lo
	v_dual_mov_b32 v14, v4 :: v_dual_add_nc_u32 v13, 0x1d4, v3
	v_add_nc_u32_e32 v17, 0x270, v3
	ds_load_2addr_b32 v[15:16], v2 offset0:56 offset1:212
	v_add_nc_u32_e32 v2, 0x900, v31
	v_add_co_u32 v5, vcc_lo, v0, v5
	v_lshlrev_b64_e32 v[13:14], 2, v[13:14]
	s_wait_alu 0xfffd
	v_add_co_ci_u32_e32 v6, vcc_lo, v1, v6, vcc_lo
	ds_load_2addr_b32 v[19:20], v2 offset0:48 offset1:204
	v_add_nc_u32_e32 v2, 0xe00, v31
	v_add_co_u32 v7, vcc_lo, v0, v7
	v_lshlrev_b64_e32 v[17:18], 2, v[17:18]
	v_mov_b32_e32 v24, v4
	s_wait_alu 0xfffd
	v_add_co_ci_u32_e32 v8, vcc_lo, v1, v8, vcc_lo
	v_add_co_u32 v13, vcc_lo, v0, v13
	v_lshlrev_b64_e32 v[21:22], 2, v[21:22]
	ds_load_2addr_b32 v[25:26], v2 offset0:40 offset1:196
	v_mov_b32_e32 v28, v4
	s_wait_alu 0xfffd
	v_add_co_ci_u32_e32 v14, vcc_lo, v1, v14, vcc_lo
	v_add_co_u32 v17, vcc_lo, v0, v17
	v_lshlrev_b64_e32 v[23:24], 2, v[23:24]
	s_wait_alu 0xfffd
	v_add_co_ci_u32_e32 v18, vcc_lo, v1, v18, vcc_lo
	v_add_co_u32 v21, vcc_lo, v0, v21
	v_lshlrev_b64_e32 v[27:28], 2, v[27:28]
	s_wait_alu 0xfffd
	v_add_co_ci_u32_e32 v22, vcc_lo, v1, v22, vcc_lo
	v_add_co_u32 v23, vcc_lo, v0, v23
	s_wait_alu 0xfffd
	v_add_co_ci_u32_e32 v24, vcc_lo, v1, v24, vcc_lo
	v_mov_b32_e32 v30, v4
	v_add_nc_u32_e32 v2, 0x1200, v31
	v_add_co_u32 v27, vcc_lo, v0, v27
	s_wait_alu 0xfffd
	v_add_co_ci_u32_e32 v28, vcc_lo, v1, v28, vcc_lo
	s_wait_dscnt 0x3
	s_clause 0x1
	global_store_b32 v[9:10], v11, off
	global_store_b32 v[5:6], v12, off
	s_wait_dscnt 0x2
	s_clause 0x1
	global_store_b32 v[7:8], v15, off
	global_store_b32 v[13:14], v16, off
	;; [unrolled: 4-line block ×4, first 2 shown]
	v_dual_mov_b32 v10, v4 :: v_dual_add_nc_u32 v9, 0x57c, v3
	v_add_nc_u32_e32 v11, 0x618, v3
	ds_load_2addr_b32 v[5:6], v2 offset0:96 offset1:252
	v_lshlrev_b64_e32 v[7:8], 2, v[29:30]
	v_add_nc_u32_e32 v2, 0x1800, v31
	v_dual_mov_b32 v12, v4 :: v_dual_add_nc_u32 v15, 0x6b4, v3
	v_lshlrev_b64_e32 v[9:10], 2, v[9:10]
	v_mov_b32_e32 v16, v4
	ds_load_2addr_b32 v[13:14], v2 offset0:24 offset1:180
	v_add_co_u32 v7, vcc_lo, v0, v7
	v_lshlrev_b64_e32 v[11:12], 2, v[11:12]
	s_wait_alu 0xfffd
	v_add_co_ci_u32_e32 v8, vcc_lo, v1, v8, vcc_lo
	v_add_co_u32 v9, vcc_lo, v0, v9
	v_lshlrev_b64_e32 v[15:16], 2, v[15:16]
	s_wait_alu 0xfffd
	v_add_co_ci_u32_e32 v10, vcc_lo, v1, v10, vcc_lo
	v_add_co_u32 v11, vcc_lo, v0, v11
	s_wait_alu 0xfffd
	v_add_co_ci_u32_e32 v12, vcc_lo, v1, v12, vcc_lo
	v_add_co_u32 v15, vcc_lo, v0, v15
	s_wait_alu 0xfffd
	v_add_co_ci_u32_e32 v16, vcc_lo, v1, v16, vcc_lo
	v_cmp_eq_u32_e32 vcc_lo, 0x9b, v3
	s_wait_dscnt 0x1
	s_clause 0x1
	global_store_b32 v[7:8], v5, off
	global_store_b32 v[9:10], v6, off
	s_wait_dscnt 0x0
	s_clause 0x1
	global_store_b32 v[11:12], v13, off
	global_store_b32 v[15:16], v14, off
	s_and_b32 exec_lo, exec_lo, vcc_lo
	s_cbranch_execz .LBB0_22
; %bb.21:
	ds_load_b32 v2, v4 offset:7488
	s_wait_dscnt 0x0
	global_store_b32 v[0:1], v2, off offset:7488
.LBB0_22:
	s_nop 0
	s_sendmsg sendmsg(MSG_DEALLOC_VGPRS)
	s_endpgm
	.section	.rodata,"a",@progbits
	.p2align	6, 0x0
	.amdhsa_kernel fft_rtc_fwd_len1872_factors_13_3_4_6_2_wgs_156_tpt_156_halfLds_half_op_CI_CI_unitstride_sbrr_R2C_dirReg
		.amdhsa_group_segment_fixed_size 0
		.amdhsa_private_segment_fixed_size 0
		.amdhsa_kernarg_size 104
		.amdhsa_user_sgpr_count 2
		.amdhsa_user_sgpr_dispatch_ptr 0
		.amdhsa_user_sgpr_queue_ptr 0
		.amdhsa_user_sgpr_kernarg_segment_ptr 1
		.amdhsa_user_sgpr_dispatch_id 0
		.amdhsa_user_sgpr_private_segment_size 0
		.amdhsa_wavefront_size32 1
		.amdhsa_uses_dynamic_stack 0
		.amdhsa_enable_private_segment 0
		.amdhsa_system_sgpr_workgroup_id_x 1
		.amdhsa_system_sgpr_workgroup_id_y 0
		.amdhsa_system_sgpr_workgroup_id_z 0
		.amdhsa_system_sgpr_workgroup_info 0
		.amdhsa_system_vgpr_workitem_id 0
		.amdhsa_next_free_vgpr 95
		.amdhsa_next_free_sgpr 39
		.amdhsa_reserve_vcc 1
		.amdhsa_float_round_mode_32 0
		.amdhsa_float_round_mode_16_64 0
		.amdhsa_float_denorm_mode_32 3
		.amdhsa_float_denorm_mode_16_64 3
		.amdhsa_fp16_overflow 0
		.amdhsa_workgroup_processor_mode 1
		.amdhsa_memory_ordered 1
		.amdhsa_forward_progress 0
		.amdhsa_round_robin_scheduling 0
		.amdhsa_exception_fp_ieee_invalid_op 0
		.amdhsa_exception_fp_denorm_src 0
		.amdhsa_exception_fp_ieee_div_zero 0
		.amdhsa_exception_fp_ieee_overflow 0
		.amdhsa_exception_fp_ieee_underflow 0
		.amdhsa_exception_fp_ieee_inexact 0
		.amdhsa_exception_int_div_zero 0
	.end_amdhsa_kernel
	.text
.Lfunc_end0:
	.size	fft_rtc_fwd_len1872_factors_13_3_4_6_2_wgs_156_tpt_156_halfLds_half_op_CI_CI_unitstride_sbrr_R2C_dirReg, .Lfunc_end0-fft_rtc_fwd_len1872_factors_13_3_4_6_2_wgs_156_tpt_156_halfLds_half_op_CI_CI_unitstride_sbrr_R2C_dirReg
                                        ; -- End function
	.section	.AMDGPU.csdata,"",@progbits
; Kernel info:
; codeLenInByte = 11196
; NumSgprs: 41
; NumVgprs: 95
; ScratchSize: 0
; MemoryBound: 0
; FloatMode: 240
; IeeeMode: 1
; LDSByteSize: 0 bytes/workgroup (compile time only)
; SGPRBlocks: 5
; VGPRBlocks: 11
; NumSGPRsForWavesPerEU: 41
; NumVGPRsForWavesPerEU: 95
; Occupancy: 15
; WaveLimiterHint : 1
; COMPUTE_PGM_RSRC2:SCRATCH_EN: 0
; COMPUTE_PGM_RSRC2:USER_SGPR: 2
; COMPUTE_PGM_RSRC2:TRAP_HANDLER: 0
; COMPUTE_PGM_RSRC2:TGID_X_EN: 1
; COMPUTE_PGM_RSRC2:TGID_Y_EN: 0
; COMPUTE_PGM_RSRC2:TGID_Z_EN: 0
; COMPUTE_PGM_RSRC2:TIDIG_COMP_CNT: 0
	.text
	.p2alignl 7, 3214868480
	.fill 96, 4, 3214868480
	.type	__hip_cuid_cfbb0c120a1ba251,@object ; @__hip_cuid_cfbb0c120a1ba251
	.section	.bss,"aw",@nobits
	.globl	__hip_cuid_cfbb0c120a1ba251
__hip_cuid_cfbb0c120a1ba251:
	.byte	0                               ; 0x0
	.size	__hip_cuid_cfbb0c120a1ba251, 1

	.ident	"AMD clang version 19.0.0git (https://github.com/RadeonOpenCompute/llvm-project roc-6.4.0 25133 c7fe45cf4b819c5991fe208aaa96edf142730f1d)"
	.section	".note.GNU-stack","",@progbits
	.addrsig
	.addrsig_sym __hip_cuid_cfbb0c120a1ba251
	.amdgpu_metadata
---
amdhsa.kernels:
  - .args:
      - .actual_access:  read_only
        .address_space:  global
        .offset:         0
        .size:           8
        .value_kind:     global_buffer
      - .offset:         8
        .size:           8
        .value_kind:     by_value
      - .actual_access:  read_only
        .address_space:  global
        .offset:         16
        .size:           8
        .value_kind:     global_buffer
      - .actual_access:  read_only
        .address_space:  global
        .offset:         24
        .size:           8
        .value_kind:     global_buffer
      - .actual_access:  read_only
        .address_space:  global
        .offset:         32
        .size:           8
        .value_kind:     global_buffer
      - .offset:         40
        .size:           8
        .value_kind:     by_value
      - .actual_access:  read_only
        .address_space:  global
        .offset:         48
        .size:           8
        .value_kind:     global_buffer
      - .actual_access:  read_only
        .address_space:  global
        .offset:         56
        .size:           8
        .value_kind:     global_buffer
      - .offset:         64
        .size:           4
        .value_kind:     by_value
      - .actual_access:  read_only
        .address_space:  global
        .offset:         72
        .size:           8
        .value_kind:     global_buffer
      - .actual_access:  read_only
        .address_space:  global
        .offset:         80
        .size:           8
        .value_kind:     global_buffer
      - .actual_access:  read_only
        .address_space:  global
        .offset:         88
        .size:           8
        .value_kind:     global_buffer
      - .actual_access:  write_only
        .address_space:  global
        .offset:         96
        .size:           8
        .value_kind:     global_buffer
    .group_segment_fixed_size: 0
    .kernarg_segment_align: 8
    .kernarg_segment_size: 104
    .language:       OpenCL C
    .language_version:
      - 2
      - 0
    .max_flat_workgroup_size: 156
    .name:           fft_rtc_fwd_len1872_factors_13_3_4_6_2_wgs_156_tpt_156_halfLds_half_op_CI_CI_unitstride_sbrr_R2C_dirReg
    .private_segment_fixed_size: 0
    .sgpr_count:     41
    .sgpr_spill_count: 0
    .symbol:         fft_rtc_fwd_len1872_factors_13_3_4_6_2_wgs_156_tpt_156_halfLds_half_op_CI_CI_unitstride_sbrr_R2C_dirReg.kd
    .uniform_work_group_size: 1
    .uses_dynamic_stack: false
    .vgpr_count:     95
    .vgpr_spill_count: 0
    .wavefront_size: 32
    .workgroup_processor_mode: 1
amdhsa.target:   amdgcn-amd-amdhsa--gfx1201
amdhsa.version:
  - 1
  - 2
...

	.end_amdgpu_metadata
